;; amdgpu-corpus repo=pytorch/pytorch kind=compiled arch=gfx1100 opt=O3
	.text
	.amdgcn_target "amdgcn-amd-amdhsa--gfx1100"
	.amdhsa_code_object_version 6
	.section	.text._ZN2at6native30max_unpooling2d_forward_kernelIhEEvlPKT_PKllllllPS2_,"axG",@progbits,_ZN2at6native30max_unpooling2d_forward_kernelIhEEvlPKT_PKllllllPS2_,comdat
	.protected	_ZN2at6native30max_unpooling2d_forward_kernelIhEEvlPKT_PKllllllPS2_ ; -- Begin function _ZN2at6native30max_unpooling2d_forward_kernelIhEEvlPKT_PKllllllPS2_
	.globl	_ZN2at6native30max_unpooling2d_forward_kernelIhEEvlPKT_PKllllllPS2_
	.p2align	8
	.type	_ZN2at6native30max_unpooling2d_forward_kernelIhEEvlPKT_PKllllllPS2_,@function
_ZN2at6native30max_unpooling2d_forward_kernelIhEEvlPKT_PKllllllPS2_: ; @_ZN2at6native30max_unpooling2d_forward_kernelIhEEvlPKT_PKllllllPS2_
; %bb.0:
	s_clause 0x1
	s_load_b32 s4, s[0:1], 0x54
	s_load_b512 s[16:31], s[0:1], 0x0
	v_mov_b32_e32 v2, 0
	s_add_u32 s2, s0, 0x48
	s_addc_u32 s3, s1, 0
	s_mov_b32 s5, exec_lo
	s_delay_alu instid0(VALU_DEP_1)
	v_mov_b32_e32 v1, v2
	s_waitcnt lgkmcnt(0)
	s_and_b32 s4, s4, 0xffff
	s_delay_alu instid0(VALU_DEP_1) | instid1(SALU_CYCLE_1)
	v_mad_u64_u32 v[4:5], null, s4, s15, v[0:1]
	s_delay_alu instid0(VALU_DEP_1)
	v_cmpx_gt_i64_e64 s[16:17], v[4:5]
	s_cbranch_execz .LBB0_18
; %bb.1:
	v_cvt_f32_u32_e32 v0, s26
	s_load_b64 s[6:7], s[0:1], 0x40
	s_load_b32 s5, s[2:3], 0x0
	s_sub_i32 s0, 0, s26
	s_mul_hi_u32 s3, s30, s28
	v_rcp_iflag_f32_e32 v0, v0
	s_mul_i32 s8, s31, s28
	s_mul_i32 s2, s30, s28
	s_mov_b32 s1, 0
                                        ; implicit-def: $sgpr14
                                        ; implicit-def: $sgpr28
                                        ; implicit-def: $sgpr15
	s_waitcnt_depctr 0xfff
	v_dual_mov_b32 v3, v4 :: v_dual_mul_f32 v0, 0x4f7ffffe, v0
	s_delay_alu instid0(VALU_DEP_1)
	v_cvt_u32_f32_e32 v0, v0
	s_waitcnt lgkmcnt(0)
	v_dual_mov_b32 v6, s6 :: v_dual_mov_b32 v7, s7
	s_mul_i32 s12, s5, s4
	s_ashr_i32 s4, s27, 31
	v_mul_lo_u32 v1, s0, v0
	s_mul_i32 s0, s30, s29
	s_mov_b32 s13, s12
	s_add_i32 s0, s3, s0
	s_ashr_i32 s6, s25, 31
	s_add_i32 s3, s0, s8
	s_delay_alu instid0(VALU_DEP_1) | instskip(NEXT) | instid1(VALU_DEP_1)
	v_mul_hi_u32 v1, v0, v1
	v_add_nc_u32_e32 v14, v0, v1
	v_dual_mov_b32 v0, v2 :: v_dual_mov_b32 v1, v3
	s_branch .LBB0_4
.LBB0_2:                                ;   in Loop: Header=BB0_4 Depth=1
	s_or_b32 exec_lo, exec_lo, s0
	v_add_co_u32 v16, vcc_lo, s18, v16
	v_add_co_ci_u32_e32 v17, vcc_lo, s19, v15, vcc_lo
	v_mul_lo_u32 v11, v12, s22
	v_ashrrev_i32_e32 v13, 31, v12
	v_add_co_u32 v4, vcc_lo, v4, s12
	global_load_u8 v3, v[16:17], off
	v_add_co_ci_u32_e32 v5, vcc_lo, 0, v5, vcc_lo
	v_add_co_u32 v0, s0, v0, 0
	v_sub_nc_u32_e32 v10, v10, v11
	v_add_co_ci_u32_e64 v1, s0, s13, v1, s0
	s_and_not1_b32 s0, s28, exec_lo
	s_and_not1_b32 s15, s15, exec_lo
	s_delay_alu instid0(VALU_DEP_2) | instskip(NEXT) | instid1(VALU_DEP_1)
	v_ashrrev_i32_e32 v11, 31, v10
	v_mad_u64_u32 v[15:16], null, v12, s22, v[10:11]
	v_mul_lo_u32 v10, v12, s23
	v_mul_lo_u32 v11, v13, s22
	s_delay_alu instid0(VALU_DEP_3) | instskip(NEXT) | instid1(VALU_DEP_2)
	v_mul_lo_u32 v12, s3, v15
	v_add3_u32 v10, v11, v16, v10
	s_delay_alu instid0(VALU_DEP_1) | instskip(SKIP_1) | instid1(VALU_DEP_1)
	v_mul_lo_u32 v13, s2, v10
	v_mad_u64_u32 v[10:11], null, s2, v15, v[6:7]
	v_add3_u32 v11, v12, v11, v13
	s_delay_alu instid0(VALU_DEP_2) | instskip(NEXT) | instid1(VALU_DEP_2)
	v_add_co_u32 v8, vcc_lo, v10, v8
	v_dual_mov_b32 v6, v10 :: v_dual_mov_b32 v7, v11
	v_add_co_ci_u32_e32 v9, vcc_lo, v11, v9, vcc_lo
	v_cmp_le_i64_e32 vcc_lo, s[16:17], v[4:5]
	s_and_b32 s5, vcc_lo, exec_lo
	s_delay_alu instid0(SALU_CYCLE_1)
	s_or_b32 s28, s0, s5
	s_waitcnt vmcnt(0)
	global_store_b8 v[8:9], v3, off
.LBB0_3:                                ;   in Loop: Header=BB0_4 Depth=1
	s_or_b32 exec_lo, exec_lo, s29
	s_delay_alu instid0(SALU_CYCLE_1) | instskip(NEXT) | instid1(SALU_CYCLE_1)
	s_and_b32 s0, exec_lo, s28
	s_or_b32 s1, s0, s1
	s_and_not1_b32 s0, s14, exec_lo
	s_and_b32 s5, s15, exec_lo
	s_delay_alu instid0(SALU_CYCLE_1)
	s_or_b32 s14, s0, s5
	s_and_not1_b32 exec_lo, exec_lo, s1
	s_cbranch_execz .LBB0_17
.LBB0_4:                                ; =>This Inner Loop Header: Depth=1
	s_delay_alu instid0(VALU_DEP_1) | instskip(SKIP_2) | instid1(VALU_DEP_1)
	v_ashrrev_i64 v[8:9], 29, v[0:1]
	s_or_b32 s15, s15, exec_lo
	s_or_b32 s28, s28, exec_lo
	v_add_co_u32 v8, vcc_lo, s20, v8
	s_delay_alu instid0(VALU_DEP_2) | instskip(SKIP_4) | instid1(VALU_DEP_2)
	v_add_co_ci_u32_e32 v9, vcc_lo, s21, v9, vcc_lo
	global_load_b64 v[8:9], v[8:9], off
	s_waitcnt vmcnt(0)
	v_ashrrev_i32_e32 v9, 31, v8
	v_cmp_lt_i32_e64 s0, -1, v8
	v_cmp_gt_i64_e32 vcc_lo, s[2:3], v[8:9]
	s_delay_alu instid0(VALU_DEP_2) | instskip(NEXT) | instid1(SALU_CYCLE_1)
	s_and_b32 s0, s0, vcc_lo
	s_and_saveexec_b32 s29, s0
	s_cbranch_execz .LBB0_3
; %bb.5:                                ;   in Loop: Header=BB0_4 Depth=1
	v_ashrrev_i32_e32 v15, 31, v1
	v_mov_b32_e32 v16, v1
                                        ; implicit-def: $vgpr12_vgpr13
	s_mov_b32 s0, exec_lo
	s_delay_alu instid0(VALU_DEP_2) | instskip(NEXT) | instid1(VALU_DEP_1)
	v_or_b32_e32 v3, s27, v15
	v_cmpx_ne_u64_e32 0, v[2:3]
	s_xor_b32 s7, exec_lo, s0
	s_cbranch_execz .LBB0_7
; %bb.6:                                ;   in Loop: Header=BB0_4 Depth=1
	s_add_u32 s8, s26, s4
	s_mov_b32 s5, s4
	s_addc_u32 s9, s27, s4
	s_delay_alu instid0(SALU_CYCLE_1) | instskip(NEXT) | instid1(SALU_CYCLE_1)
	s_xor_b64 s[8:9], s[8:9], s[4:5]
	v_cvt_f32_u32_e32 v3, s8
	v_cvt_f32_u32_e32 v10, s9
	s_sub_u32 s0, 0, s8
	s_subb_u32 s5, 0, s9
	s_delay_alu instid0(VALU_DEP_1) | instskip(NEXT) | instid1(VALU_DEP_1)
	v_fmac_f32_e32 v3, 0x4f800000, v10
	v_rcp_f32_e32 v3, v3
	s_waitcnt_depctr 0xfff
	v_mul_f32_e32 v3, 0x5f7ffffc, v3
	s_delay_alu instid0(VALU_DEP_1) | instskip(NEXT) | instid1(VALU_DEP_1)
	v_mul_f32_e32 v10, 0x2f800000, v3
	v_trunc_f32_e32 v10, v10
	s_delay_alu instid0(VALU_DEP_1) | instskip(SKIP_1) | instid1(VALU_DEP_2)
	v_fmac_f32_e32 v3, 0xcf800000, v10
	v_cvt_u32_f32_e32 v10, v10
	v_cvt_u32_f32_e32 v3, v3
	s_delay_alu instid0(VALU_DEP_2) | instskip(NEXT) | instid1(VALU_DEP_2)
	v_mul_lo_u32 v11, s0, v10
	v_mul_hi_u32 v12, s0, v3
	v_mul_lo_u32 v13, s5, v3
	s_delay_alu instid0(VALU_DEP_2) | instskip(SKIP_1) | instid1(VALU_DEP_2)
	v_add_nc_u32_e32 v11, v12, v11
	v_mul_lo_u32 v12, s0, v3
	v_add_nc_u32_e32 v11, v11, v13
	s_delay_alu instid0(VALU_DEP_2) | instskip(NEXT) | instid1(VALU_DEP_2)
	v_mul_hi_u32 v13, v3, v12
	v_mul_lo_u32 v17, v3, v11
	v_mul_hi_u32 v18, v3, v11
	v_mul_hi_u32 v19, v10, v12
	v_mul_lo_u32 v12, v10, v12
	v_mul_hi_u32 v20, v10, v11
	v_mul_lo_u32 v11, v10, v11
	v_add_co_u32 v13, vcc_lo, v13, v17
	v_add_co_ci_u32_e32 v17, vcc_lo, 0, v18, vcc_lo
	s_delay_alu instid0(VALU_DEP_2) | instskip(NEXT) | instid1(VALU_DEP_2)
	v_add_co_u32 v12, vcc_lo, v13, v12
	v_add_co_ci_u32_e32 v12, vcc_lo, v17, v19, vcc_lo
	v_add_co_ci_u32_e32 v13, vcc_lo, 0, v20, vcc_lo
	v_ashrrev_i32_e32 v19, 31, v15
	s_delay_alu instid0(VALU_DEP_3) | instskip(NEXT) | instid1(VALU_DEP_3)
	v_add_co_u32 v11, vcc_lo, v12, v11
	v_add_co_ci_u32_e32 v12, vcc_lo, 0, v13, vcc_lo
	s_delay_alu instid0(VALU_DEP_2) | instskip(NEXT) | instid1(VALU_DEP_2)
	v_add_co_u32 v3, vcc_lo, v3, v11
	v_add_co_ci_u32_e32 v10, vcc_lo, v10, v12, vcc_lo
	s_delay_alu instid0(VALU_DEP_2) | instskip(SKIP_1) | instid1(VALU_DEP_3)
	v_mul_hi_u32 v11, s0, v3
	v_mul_lo_u32 v13, s5, v3
	v_mul_lo_u32 v12, s0, v10
	s_delay_alu instid0(VALU_DEP_1) | instskip(SKIP_1) | instid1(VALU_DEP_2)
	v_add_nc_u32_e32 v11, v11, v12
	v_mul_lo_u32 v12, s0, v3
	v_add_nc_u32_e32 v11, v11, v13
	s_delay_alu instid0(VALU_DEP_2) | instskip(NEXT) | instid1(VALU_DEP_2)
	v_mul_hi_u32 v13, v3, v12
	v_mul_lo_u32 v17, v3, v11
	v_mul_hi_u32 v18, v3, v11
	v_mul_hi_u32 v20, v10, v12
	v_mul_lo_u32 v12, v10, v12
	v_mul_hi_u32 v21, v10, v11
	v_mul_lo_u32 v11, v10, v11
	v_add_co_u32 v13, vcc_lo, v13, v17
	v_add_co_ci_u32_e32 v17, vcc_lo, 0, v18, vcc_lo
	s_delay_alu instid0(VALU_DEP_2) | instskip(NEXT) | instid1(VALU_DEP_2)
	v_add_co_u32 v12, vcc_lo, v13, v12
	v_add_co_ci_u32_e32 v12, vcc_lo, v17, v20, vcc_lo
	v_add_co_ci_u32_e32 v13, vcc_lo, 0, v21, vcc_lo
	v_add_co_u32 v17, vcc_lo, v16, v19
	v_add_co_ci_u32_e32 v18, vcc_lo, v15, v19, vcc_lo
	s_delay_alu instid0(VALU_DEP_4) | instskip(NEXT) | instid1(VALU_DEP_4)
	v_add_co_u32 v11, vcc_lo, v12, v11
	v_add_co_ci_u32_e32 v12, vcc_lo, 0, v13, vcc_lo
	s_delay_alu instid0(VALU_DEP_4) | instskip(NEXT) | instid1(VALU_DEP_3)
	v_xor_b32_e32 v20, v17, v19
	v_add_co_u32 v3, vcc_lo, v3, v11
	s_delay_alu instid0(VALU_DEP_3) | instskip(SKIP_1) | instid1(VALU_DEP_3)
	v_add_co_ci_u32_e32 v21, vcc_lo, v10, v12, vcc_lo
	v_xor_b32_e32 v22, v18, v19
	v_mul_hi_u32 v23, v20, v3
	s_delay_alu instid0(VALU_DEP_3) | instskip(NEXT) | instid1(VALU_DEP_3)
	v_mad_u64_u32 v[10:11], null, v20, v21, 0
	v_mad_u64_u32 v[12:13], null, v22, v3, 0
	;; [unrolled: 1-line block ×3, first 2 shown]
	s_delay_alu instid0(VALU_DEP_3) | instskip(NEXT) | instid1(VALU_DEP_4)
	v_add_co_u32 v3, vcc_lo, v23, v10
	v_add_co_ci_u32_e32 v10, vcc_lo, 0, v11, vcc_lo
	s_delay_alu instid0(VALU_DEP_2) | instskip(NEXT) | instid1(VALU_DEP_2)
	v_add_co_u32 v3, vcc_lo, v3, v12
	v_add_co_ci_u32_e32 v3, vcc_lo, v10, v13, vcc_lo
	v_add_co_ci_u32_e32 v10, vcc_lo, 0, v18, vcc_lo
	s_delay_alu instid0(VALU_DEP_2) | instskip(NEXT) | instid1(VALU_DEP_2)
	v_add_co_u32 v3, vcc_lo, v3, v17
	v_add_co_ci_u32_e32 v12, vcc_lo, 0, v10, vcc_lo
	s_delay_alu instid0(VALU_DEP_2) | instskip(SKIP_1) | instid1(VALU_DEP_3)
	v_mul_lo_u32 v13, s9, v3
	v_mad_u64_u32 v[10:11], null, s8, v3, 0
	v_mul_lo_u32 v17, s8, v12
	s_delay_alu instid0(VALU_DEP_2) | instskip(NEXT) | instid1(VALU_DEP_2)
	v_sub_co_u32 v10, vcc_lo, v20, v10
	v_add3_u32 v11, v11, v17, v13
	s_delay_alu instid0(VALU_DEP_1) | instskip(NEXT) | instid1(VALU_DEP_1)
	v_sub_nc_u32_e32 v13, v22, v11
	v_subrev_co_ci_u32_e64 v13, s0, s9, v13, vcc_lo
	v_add_co_u32 v17, s0, v3, 2
	s_delay_alu instid0(VALU_DEP_1) | instskip(SKIP_3) | instid1(VALU_DEP_3)
	v_add_co_ci_u32_e64 v18, s0, 0, v12, s0
	v_sub_co_u32 v20, s0, v10, s8
	v_sub_co_ci_u32_e32 v11, vcc_lo, v22, v11, vcc_lo
	v_subrev_co_ci_u32_e64 v13, s0, 0, v13, s0
	v_cmp_le_u32_e32 vcc_lo, s8, v20
	s_delay_alu instid0(VALU_DEP_3) | instskip(SKIP_1) | instid1(VALU_DEP_4)
	v_cmp_eq_u32_e64 s0, s9, v11
	v_cndmask_b32_e64 v20, 0, -1, vcc_lo
	v_cmp_le_u32_e32 vcc_lo, s9, v13
	v_cndmask_b32_e64 v21, 0, -1, vcc_lo
	v_cmp_le_u32_e32 vcc_lo, s8, v10
	;; [unrolled: 2-line block ×3, first 2 shown]
	v_cndmask_b32_e64 v22, 0, -1, vcc_lo
	v_cmp_eq_u32_e32 vcc_lo, s9, v13
	s_delay_alu instid0(VALU_DEP_2) | instskip(SKIP_3) | instid1(VALU_DEP_3)
	v_cndmask_b32_e64 v10, v22, v10, s0
	v_cndmask_b32_e32 v13, v21, v20, vcc_lo
	v_add_co_u32 v20, vcc_lo, v3, 1
	v_add_co_ci_u32_e32 v21, vcc_lo, 0, v12, vcc_lo
	v_cmp_ne_u32_e32 vcc_lo, 0, v13
	s_delay_alu instid0(VALU_DEP_2) | instskip(NEXT) | instid1(VALU_DEP_4)
	v_cndmask_b32_e32 v11, v21, v18, vcc_lo
	v_cndmask_b32_e32 v13, v20, v17, vcc_lo
	v_cmp_ne_u32_e32 vcc_lo, 0, v10
	v_xor_b32_e32 v10, s4, v19
	s_delay_alu instid0(VALU_DEP_3) | instskip(SKIP_1) | instid1(VALU_DEP_2)
	v_cndmask_b32_e32 v3, v3, v13, vcc_lo
	v_cndmask_b32_e32 v11, v12, v11, vcc_lo
	v_xor_b32_e32 v3, v3, v10
	s_delay_alu instid0(VALU_DEP_2) | instskip(NEXT) | instid1(VALU_DEP_2)
	v_xor_b32_e32 v11, v11, v10
	v_sub_co_u32 v12, vcc_lo, v3, v10
	s_delay_alu instid0(VALU_DEP_2)
	v_sub_co_ci_u32_e32 v13, vcc_lo, v11, v10, vcc_lo
.LBB0_7:                                ;   in Loop: Header=BB0_4 Depth=1
	s_and_not1_saveexec_b32 s0, s7
; %bb.8:                                ;   in Loop: Header=BB0_4 Depth=1
	v_mul_hi_u32 v3, v1, v14
	v_mov_b32_e32 v13, v2
	s_delay_alu instid0(VALU_DEP_2) | instskip(NEXT) | instid1(VALU_DEP_1)
	v_mul_lo_u32 v10, v3, s26
	v_sub_nc_u32_e32 v10, v1, v10
	s_delay_alu instid0(VALU_DEP_1) | instskip(SKIP_1) | instid1(VALU_DEP_2)
	v_subrev_nc_u32_e32 v12, s26, v10
	v_cmp_le_u32_e32 vcc_lo, s26, v10
	v_dual_cndmask_b32 v10, v10, v12 :: v_dual_add_nc_u32 v11, 1, v3
	s_delay_alu instid0(VALU_DEP_1) | instskip(NEXT) | instid1(VALU_DEP_2)
	v_cndmask_b32_e32 v3, v3, v11, vcc_lo
	v_cmp_le_u32_e32 vcc_lo, s26, v10
	s_delay_alu instid0(VALU_DEP_2) | instskip(NEXT) | instid1(VALU_DEP_1)
	v_add_nc_u32_e32 v11, 1, v3
	v_cndmask_b32_e32 v12, v3, v11, vcc_lo
; %bb.9:                                ;   in Loop: Header=BB0_4 Depth=1
	s_or_b32 exec_lo, exec_lo, s0
	v_or_b32_e32 v3, s25, v13
                                        ; implicit-def: $vgpr10_vgpr11
	s_mov_b32 s0, exec_lo
	s_delay_alu instid0(VALU_DEP_1)
	v_cmpx_ne_u64_e32 0, v[2:3]
	s_xor_b32 s5, exec_lo, s0
	s_cbranch_execz .LBB0_11
; %bb.10:                               ;   in Loop: Header=BB0_4 Depth=1
	s_add_u32 s8, s24, s6
	s_mov_b32 s7, s6
	s_addc_u32 s9, s25, s6
	s_delay_alu instid0(SALU_CYCLE_1) | instskip(NEXT) | instid1(SALU_CYCLE_1)
	s_xor_b64 s[8:9], s[8:9], s[6:7]
	v_cvt_f32_u32_e32 v3, s8
	v_cvt_f32_u32_e32 v10, s9
	s_sub_u32 s0, 0, s8
	s_subb_u32 s7, 0, s9
	s_delay_alu instid0(VALU_DEP_1) | instskip(NEXT) | instid1(VALU_DEP_1)
	v_fmac_f32_e32 v3, 0x4f800000, v10
	v_rcp_f32_e32 v3, v3
	s_waitcnt_depctr 0xfff
	v_mul_f32_e32 v3, 0x5f7ffffc, v3
	s_delay_alu instid0(VALU_DEP_1) | instskip(NEXT) | instid1(VALU_DEP_1)
	v_mul_f32_e32 v10, 0x2f800000, v3
	v_trunc_f32_e32 v10, v10
	s_delay_alu instid0(VALU_DEP_1) | instskip(SKIP_1) | instid1(VALU_DEP_2)
	v_fmac_f32_e32 v3, 0xcf800000, v10
	v_cvt_u32_f32_e32 v10, v10
	v_cvt_u32_f32_e32 v3, v3
	s_delay_alu instid0(VALU_DEP_2) | instskip(NEXT) | instid1(VALU_DEP_2)
	v_mul_lo_u32 v11, s0, v10
	v_mul_hi_u32 v17, s0, v3
	v_mul_lo_u32 v18, s7, v3
	s_delay_alu instid0(VALU_DEP_2) | instskip(SKIP_1) | instid1(VALU_DEP_2)
	v_add_nc_u32_e32 v11, v17, v11
	v_mul_lo_u32 v17, s0, v3
	v_add_nc_u32_e32 v11, v11, v18
	s_delay_alu instid0(VALU_DEP_2) | instskip(NEXT) | instid1(VALU_DEP_2)
	v_mul_hi_u32 v18, v3, v17
	v_mul_lo_u32 v19, v3, v11
	v_mul_hi_u32 v20, v3, v11
	v_mul_hi_u32 v21, v10, v17
	v_mul_lo_u32 v17, v10, v17
	v_mul_hi_u32 v22, v10, v11
	v_mul_lo_u32 v11, v10, v11
	v_add_co_u32 v18, vcc_lo, v18, v19
	v_add_co_ci_u32_e32 v19, vcc_lo, 0, v20, vcc_lo
	s_delay_alu instid0(VALU_DEP_2) | instskip(NEXT) | instid1(VALU_DEP_2)
	v_add_co_u32 v17, vcc_lo, v18, v17
	v_add_co_ci_u32_e32 v17, vcc_lo, v19, v21, vcc_lo
	v_add_co_ci_u32_e32 v18, vcc_lo, 0, v22, vcc_lo
	v_ashrrev_i32_e32 v21, 31, v13
	s_delay_alu instid0(VALU_DEP_3) | instskip(NEXT) | instid1(VALU_DEP_3)
	v_add_co_u32 v11, vcc_lo, v17, v11
	v_add_co_ci_u32_e32 v17, vcc_lo, 0, v18, vcc_lo
	s_delay_alu instid0(VALU_DEP_2) | instskip(NEXT) | instid1(VALU_DEP_2)
	v_add_co_u32 v3, vcc_lo, v3, v11
	v_add_co_ci_u32_e32 v10, vcc_lo, v10, v17, vcc_lo
	s_delay_alu instid0(VALU_DEP_2) | instskip(SKIP_1) | instid1(VALU_DEP_3)
	v_mul_hi_u32 v11, s0, v3
	v_mul_lo_u32 v18, s7, v3
	v_mul_lo_u32 v17, s0, v10
	s_delay_alu instid0(VALU_DEP_1) | instskip(SKIP_1) | instid1(VALU_DEP_2)
	v_add_nc_u32_e32 v11, v11, v17
	v_mul_lo_u32 v17, s0, v3
	v_add_nc_u32_e32 v11, v11, v18
	s_delay_alu instid0(VALU_DEP_2) | instskip(NEXT) | instid1(VALU_DEP_2)
	v_mul_hi_u32 v18, v3, v17
	v_mul_lo_u32 v19, v3, v11
	v_mul_hi_u32 v20, v3, v11
	v_mul_hi_u32 v22, v10, v17
	v_mul_lo_u32 v17, v10, v17
	v_mul_hi_u32 v23, v10, v11
	v_mul_lo_u32 v11, v10, v11
	v_add_co_u32 v18, vcc_lo, v18, v19
	v_add_co_ci_u32_e32 v19, vcc_lo, 0, v20, vcc_lo
	s_delay_alu instid0(VALU_DEP_2) | instskip(NEXT) | instid1(VALU_DEP_2)
	v_add_co_u32 v17, vcc_lo, v18, v17
	v_add_co_ci_u32_e32 v17, vcc_lo, v19, v22, vcc_lo
	v_add_co_ci_u32_e32 v18, vcc_lo, 0, v23, vcc_lo
	v_add_co_u32 v12, vcc_lo, v12, v21
	v_add_co_ci_u32_e32 v13, vcc_lo, v13, v21, vcc_lo
	s_delay_alu instid0(VALU_DEP_4) | instskip(NEXT) | instid1(VALU_DEP_4)
	v_add_co_u32 v11, vcc_lo, v17, v11
	v_add_co_ci_u32_e32 v17, vcc_lo, 0, v18, vcc_lo
	s_delay_alu instid0(VALU_DEP_4) | instskip(NEXT) | instid1(VALU_DEP_3)
	v_xor_b32_e32 v19, v12, v21
	v_add_co_u32 v3, vcc_lo, v3, v11
	s_delay_alu instid0(VALU_DEP_3) | instskip(SKIP_1) | instid1(VALU_DEP_3)
	v_add_co_ci_u32_e32 v20, vcc_lo, v10, v17, vcc_lo
	v_xor_b32_e32 v22, v13, v21
	v_mul_hi_u32 v23, v19, v3
	s_delay_alu instid0(VALU_DEP_3) | instskip(NEXT) | instid1(VALU_DEP_3)
	v_mad_u64_u32 v[10:11], null, v19, v20, 0
	v_mad_u64_u32 v[12:13], null, v22, v3, 0
	;; [unrolled: 1-line block ×3, first 2 shown]
	s_delay_alu instid0(VALU_DEP_3) | instskip(NEXT) | instid1(VALU_DEP_4)
	v_add_co_u32 v3, vcc_lo, v23, v10
	v_add_co_ci_u32_e32 v10, vcc_lo, 0, v11, vcc_lo
	s_delay_alu instid0(VALU_DEP_2) | instskip(NEXT) | instid1(VALU_DEP_2)
	v_add_co_u32 v3, vcc_lo, v3, v12
	v_add_co_ci_u32_e32 v3, vcc_lo, v10, v13, vcc_lo
	v_add_co_ci_u32_e32 v10, vcc_lo, 0, v18, vcc_lo
	s_delay_alu instid0(VALU_DEP_2) | instskip(NEXT) | instid1(VALU_DEP_2)
	v_add_co_u32 v3, vcc_lo, v3, v17
	v_add_co_ci_u32_e32 v12, vcc_lo, 0, v10, vcc_lo
	s_delay_alu instid0(VALU_DEP_2) | instskip(SKIP_1) | instid1(VALU_DEP_3)
	v_mul_lo_u32 v13, s9, v3
	v_mad_u64_u32 v[10:11], null, s8, v3, 0
	v_mul_lo_u32 v17, s8, v12
	s_delay_alu instid0(VALU_DEP_2) | instskip(NEXT) | instid1(VALU_DEP_2)
	v_sub_co_u32 v10, vcc_lo, v19, v10
	v_add3_u32 v11, v11, v17, v13
	s_delay_alu instid0(VALU_DEP_1) | instskip(NEXT) | instid1(VALU_DEP_1)
	v_sub_nc_u32_e32 v13, v22, v11
	v_subrev_co_ci_u32_e64 v13, s0, s9, v13, vcc_lo
	v_add_co_u32 v17, s0, v3, 2
	s_delay_alu instid0(VALU_DEP_1) | instskip(SKIP_3) | instid1(VALU_DEP_3)
	v_add_co_ci_u32_e64 v18, s0, 0, v12, s0
	v_sub_co_u32 v19, s0, v10, s8
	v_sub_co_ci_u32_e32 v11, vcc_lo, v22, v11, vcc_lo
	v_subrev_co_ci_u32_e64 v13, s0, 0, v13, s0
	v_cmp_le_u32_e32 vcc_lo, s8, v19
	s_delay_alu instid0(VALU_DEP_3) | instskip(SKIP_1) | instid1(VALU_DEP_4)
	v_cmp_eq_u32_e64 s0, s9, v11
	v_cndmask_b32_e64 v19, 0, -1, vcc_lo
	v_cmp_le_u32_e32 vcc_lo, s9, v13
	v_cndmask_b32_e64 v20, 0, -1, vcc_lo
	v_cmp_le_u32_e32 vcc_lo, s8, v10
	;; [unrolled: 2-line block ×3, first 2 shown]
	v_cndmask_b32_e64 v22, 0, -1, vcc_lo
	v_cmp_eq_u32_e32 vcc_lo, s9, v13
	s_delay_alu instid0(VALU_DEP_2) | instskip(SKIP_3) | instid1(VALU_DEP_3)
	v_cndmask_b32_e64 v10, v22, v10, s0
	v_cndmask_b32_e32 v13, v20, v19, vcc_lo
	v_add_co_u32 v19, vcc_lo, v3, 1
	v_add_co_ci_u32_e32 v20, vcc_lo, 0, v12, vcc_lo
	v_cmp_ne_u32_e32 vcc_lo, 0, v13
	s_delay_alu instid0(VALU_DEP_2) | instskip(NEXT) | instid1(VALU_DEP_4)
	v_cndmask_b32_e32 v11, v20, v18, vcc_lo
	v_cndmask_b32_e32 v13, v19, v17, vcc_lo
	v_cmp_ne_u32_e32 vcc_lo, 0, v10
	v_xor_b32_e32 v17, s6, v21
	s_delay_alu instid0(VALU_DEP_3) | instskip(NEXT) | instid1(VALU_DEP_1)
	v_dual_cndmask_b32 v3, v3, v13 :: v_dual_cndmask_b32 v10, v12, v11
                                        ; implicit-def: $vgpr12_vgpr13
	v_xor_b32_e32 v3, v3, v17
	s_delay_alu instid0(VALU_DEP_2) | instskip(NEXT) | instid1(VALU_DEP_2)
	v_xor_b32_e32 v11, v10, v17
	v_sub_co_u32 v10, vcc_lo, v3, v17
	s_delay_alu instid0(VALU_DEP_2)
	v_sub_co_ci_u32_e32 v11, vcc_lo, v11, v17, vcc_lo
.LBB0_11:                               ;   in Loop: Header=BB0_4 Depth=1
	s_and_not1_saveexec_b32 s0, s5
	s_cbranch_execz .LBB0_13
; %bb.12:                               ;   in Loop: Header=BB0_4 Depth=1
	v_cvt_f32_u32_e32 v3, s24
	s_sub_i32 s5, 0, s24
	s_delay_alu instid0(VALU_DEP_1) | instskip(SKIP_2) | instid1(VALU_DEP_1)
	v_rcp_iflag_f32_e32 v3, v3
	s_waitcnt_depctr 0xfff
	v_mul_f32_e32 v3, 0x4f7ffffe, v3
	v_cvt_u32_f32_e32 v3, v3
	s_delay_alu instid0(VALU_DEP_1) | instskip(NEXT) | instid1(VALU_DEP_1)
	v_mul_lo_u32 v10, s5, v3
	v_mul_hi_u32 v10, v3, v10
	s_delay_alu instid0(VALU_DEP_1) | instskip(NEXT) | instid1(VALU_DEP_1)
	v_add_nc_u32_e32 v3, v3, v10
	v_mul_hi_u32 v3, v12, v3
	s_delay_alu instid0(VALU_DEP_1) | instskip(SKIP_1) | instid1(VALU_DEP_2)
	v_mul_lo_u32 v10, v3, s24
	v_add_nc_u32_e32 v11, 1, v3
	v_sub_nc_u32_e32 v10, v12, v10
	s_delay_alu instid0(VALU_DEP_1) | instskip(SKIP_1) | instid1(VALU_DEP_2)
	v_subrev_nc_u32_e32 v12, s24, v10
	v_cmp_le_u32_e32 vcc_lo, s24, v10
	v_dual_cndmask_b32 v10, v10, v12 :: v_dual_cndmask_b32 v3, v3, v11
	s_delay_alu instid0(VALU_DEP_1) | instskip(NEXT) | instid1(VALU_DEP_2)
	v_cmp_le_u32_e32 vcc_lo, s24, v10
	v_add_nc_u32_e32 v11, 1, v3
	s_delay_alu instid0(VALU_DEP_1)
	v_dual_cndmask_b32 v10, v3, v11 :: v_dual_mov_b32 v11, v2
.LBB0_13:                               ;   in Loop: Header=BB0_4 Depth=1
	s_or_b32 exec_lo, exec_lo, s0
	s_delay_alu instid0(VALU_DEP_1) | instskip(SKIP_1) | instid1(VALU_DEP_1)
	v_or_b32_e32 v3, s23, v11
                                        ; implicit-def: $vgpr12_vgpr13
	s_mov_b32 s0, exec_lo
	v_cmpx_ne_u64_e32 0, v[2:3]
	s_xor_b32 s5, exec_lo, s0
	s_cbranch_execz .LBB0_15
; %bb.14:                               ;   in Loop: Header=BB0_4 Depth=1
	s_ashr_i32 s8, s23, 31
	s_delay_alu instid0(SALU_CYCLE_1) | instskip(SKIP_2) | instid1(SALU_CYCLE_1)
	s_add_u32 s10, s22, s8
	s_mov_b32 s9, s8
	s_addc_u32 s11, s23, s8
	s_xor_b64 s[10:11], s[10:11], s[8:9]
	s_delay_alu instid0(SALU_CYCLE_1) | instskip(SKIP_3) | instid1(VALU_DEP_1)
	v_cvt_f32_u32_e32 v3, s10
	v_cvt_f32_u32_e32 v12, s11
	s_sub_u32 s0, 0, s10
	s_subb_u32 s7, 0, s11
	v_fmac_f32_e32 v3, 0x4f800000, v12
	s_delay_alu instid0(VALU_DEP_1) | instskip(SKIP_2) | instid1(VALU_DEP_1)
	v_rcp_f32_e32 v3, v3
	s_waitcnt_depctr 0xfff
	v_mul_f32_e32 v3, 0x5f7ffffc, v3
	v_mul_f32_e32 v12, 0x2f800000, v3
	s_delay_alu instid0(VALU_DEP_1) | instskip(NEXT) | instid1(VALU_DEP_1)
	v_trunc_f32_e32 v12, v12
	v_fmac_f32_e32 v3, 0xcf800000, v12
	v_cvt_u32_f32_e32 v12, v12
	s_delay_alu instid0(VALU_DEP_2) | instskip(NEXT) | instid1(VALU_DEP_2)
	v_cvt_u32_f32_e32 v3, v3
	v_mul_lo_u32 v13, s0, v12
	s_delay_alu instid0(VALU_DEP_2) | instskip(SKIP_1) | instid1(VALU_DEP_2)
	v_mul_hi_u32 v17, s0, v3
	v_mul_lo_u32 v18, s7, v3
	v_add_nc_u32_e32 v13, v17, v13
	v_mul_lo_u32 v17, s0, v3
	s_delay_alu instid0(VALU_DEP_2) | instskip(NEXT) | instid1(VALU_DEP_2)
	v_add_nc_u32_e32 v13, v13, v18
	v_mul_hi_u32 v18, v3, v17
	s_delay_alu instid0(VALU_DEP_2)
	v_mul_lo_u32 v19, v3, v13
	v_mul_hi_u32 v20, v3, v13
	v_mul_hi_u32 v21, v12, v17
	v_mul_lo_u32 v17, v12, v17
	v_mul_hi_u32 v22, v12, v13
	v_mul_lo_u32 v13, v12, v13
	v_add_co_u32 v18, vcc_lo, v18, v19
	v_add_co_ci_u32_e32 v19, vcc_lo, 0, v20, vcc_lo
	s_delay_alu instid0(VALU_DEP_2) | instskip(NEXT) | instid1(VALU_DEP_2)
	v_add_co_u32 v17, vcc_lo, v18, v17
	v_add_co_ci_u32_e32 v17, vcc_lo, v19, v21, vcc_lo
	v_add_co_ci_u32_e32 v18, vcc_lo, 0, v22, vcc_lo
	v_ashrrev_i32_e32 v21, 31, v11
	s_delay_alu instid0(VALU_DEP_3) | instskip(NEXT) | instid1(VALU_DEP_3)
	v_add_co_u32 v13, vcc_lo, v17, v13
	v_add_co_ci_u32_e32 v17, vcc_lo, 0, v18, vcc_lo
	s_delay_alu instid0(VALU_DEP_2) | instskip(NEXT) | instid1(VALU_DEP_2)
	v_add_co_u32 v3, vcc_lo, v3, v13
	v_add_co_ci_u32_e32 v12, vcc_lo, v12, v17, vcc_lo
	s_delay_alu instid0(VALU_DEP_2) | instskip(SKIP_1) | instid1(VALU_DEP_3)
	v_mul_hi_u32 v13, s0, v3
	v_mul_lo_u32 v18, s7, v3
	v_mul_lo_u32 v17, s0, v12
	s_delay_alu instid0(VALU_DEP_1) | instskip(SKIP_1) | instid1(VALU_DEP_2)
	v_add_nc_u32_e32 v13, v13, v17
	v_mul_lo_u32 v17, s0, v3
	v_add_nc_u32_e32 v13, v13, v18
	s_delay_alu instid0(VALU_DEP_2) | instskip(NEXT) | instid1(VALU_DEP_2)
	v_mul_hi_u32 v18, v3, v17
	v_mul_lo_u32 v19, v3, v13
	v_mul_hi_u32 v20, v3, v13
	v_mul_hi_u32 v22, v12, v17
	v_mul_lo_u32 v17, v12, v17
	v_mul_hi_u32 v23, v12, v13
	v_mul_lo_u32 v13, v12, v13
	v_add_co_u32 v18, vcc_lo, v18, v19
	v_add_co_ci_u32_e32 v19, vcc_lo, 0, v20, vcc_lo
	s_delay_alu instid0(VALU_DEP_2) | instskip(NEXT) | instid1(VALU_DEP_2)
	v_add_co_u32 v17, vcc_lo, v18, v17
	v_add_co_ci_u32_e32 v17, vcc_lo, v19, v22, vcc_lo
	v_add_co_ci_u32_e32 v18, vcc_lo, 0, v23, vcc_lo
	v_add_co_u32 v19, vcc_lo, v10, v21
	v_add_co_ci_u32_e32 v11, vcc_lo, v11, v21, vcc_lo
	s_delay_alu instid0(VALU_DEP_4) | instskip(NEXT) | instid1(VALU_DEP_4)
	v_add_co_u32 v13, vcc_lo, v17, v13
	v_add_co_ci_u32_e32 v17, vcc_lo, 0, v18, vcc_lo
	s_delay_alu instid0(VALU_DEP_4) | instskip(NEXT) | instid1(VALU_DEP_3)
	v_xor_b32_e32 v22, v19, v21
	v_add_co_u32 v3, vcc_lo, v3, v13
	s_delay_alu instid0(VALU_DEP_3) | instskip(SKIP_1) | instid1(VALU_DEP_3)
	v_add_co_ci_u32_e32 v13, vcc_lo, v12, v17, vcc_lo
	v_xor_b32_e32 v23, v11, v21
	v_mul_hi_u32 v24, v22, v3
	s_delay_alu instid0(VALU_DEP_3) | instskip(NEXT) | instid1(VALU_DEP_3)
	v_mad_u64_u32 v[11:12], null, v22, v13, 0
	v_mad_u64_u32 v[17:18], null, v23, v3, 0
	;; [unrolled: 1-line block ×3, first 2 shown]
	s_delay_alu instid0(VALU_DEP_3) | instskip(NEXT) | instid1(VALU_DEP_4)
	v_add_co_u32 v3, vcc_lo, v24, v11
	v_add_co_ci_u32_e32 v11, vcc_lo, 0, v12, vcc_lo
	s_delay_alu instid0(VALU_DEP_2) | instskip(NEXT) | instid1(VALU_DEP_2)
	v_add_co_u32 v3, vcc_lo, v3, v17
	v_add_co_ci_u32_e32 v3, vcc_lo, v11, v18, vcc_lo
	v_add_co_ci_u32_e32 v11, vcc_lo, 0, v20, vcc_lo
	s_delay_alu instid0(VALU_DEP_2) | instskip(NEXT) | instid1(VALU_DEP_2)
	v_add_co_u32 v3, vcc_lo, v3, v19
	v_add_co_ci_u32_e32 v13, vcc_lo, 0, v11, vcc_lo
	s_delay_alu instid0(VALU_DEP_2) | instskip(SKIP_1) | instid1(VALU_DEP_3)
	v_mul_lo_u32 v17, s11, v3
	v_mad_u64_u32 v[11:12], null, s10, v3, 0
	v_mul_lo_u32 v13, s10, v13
	s_delay_alu instid0(VALU_DEP_2) | instskip(NEXT) | instid1(VALU_DEP_2)
	v_sub_co_u32 v11, vcc_lo, v22, v11
	v_add3_u32 v12, v12, v13, v17
	v_add_co_u32 v17, s0, v3, 2
	s_delay_alu instid0(VALU_DEP_2) | instskip(NEXT) | instid1(VALU_DEP_1)
	v_sub_nc_u32_e32 v13, v23, v12
	v_subrev_co_ci_u32_e64 v13, s0, s11, v13, vcc_lo
	v_sub_co_u32 v18, s0, v11, s10
	v_sub_co_ci_u32_e32 v12, vcc_lo, v23, v12, vcc_lo
	s_delay_alu instid0(VALU_DEP_3) | instskip(NEXT) | instid1(VALU_DEP_3)
	v_subrev_co_ci_u32_e64 v13, s0, 0, v13, s0
	v_cmp_le_u32_e32 vcc_lo, s10, v18
	v_cndmask_b32_e64 v18, 0, -1, vcc_lo
	s_delay_alu instid0(VALU_DEP_3)
	v_cmp_le_u32_e32 vcc_lo, s11, v13
	v_cndmask_b32_e64 v19, 0, -1, vcc_lo
	v_cmp_le_u32_e32 vcc_lo, s10, v11
	v_cndmask_b32_e64 v11, 0, -1, vcc_lo
	;; [unrolled: 2-line block ×3, first 2 shown]
	v_cmp_eq_u32_e32 vcc_lo, s11, v13
	v_cndmask_b32_e32 v13, v19, v18, vcc_lo
	v_add_co_u32 v18, vcc_lo, v3, 1
	v_cmp_eq_u32_e32 vcc_lo, s11, v12
	v_cndmask_b32_e32 v11, v20, v11, vcc_lo
	s_delay_alu instid0(VALU_DEP_4) | instskip(NEXT) | instid1(VALU_DEP_4)
	v_cmp_ne_u32_e32 vcc_lo, 0, v13
	v_cndmask_b32_e32 v12, v18, v17, vcc_lo
	s_delay_alu instid0(VALU_DEP_3) | instskip(SKIP_1) | instid1(VALU_DEP_3)
	v_cmp_ne_u32_e32 vcc_lo, 0, v11
	v_xor_b32_e32 v11, s8, v21
	v_cndmask_b32_e32 v3, v3, v12, vcc_lo
	s_delay_alu instid0(VALU_DEP_1) | instskip(NEXT) | instid1(VALU_DEP_1)
	v_xor_b32_e32 v3, v3, v11
	v_sub_co_u32 v12, vcc_lo, v3, v11
.LBB0_15:                               ;   in Loop: Header=BB0_4 Depth=1
	s_and_not1_saveexec_b32 s0, s5
	s_cbranch_execz .LBB0_2
; %bb.16:                               ;   in Loop: Header=BB0_4 Depth=1
	v_cvt_f32_u32_e32 v3, s22
	s_sub_i32 s5, 0, s22
	s_delay_alu instid0(VALU_DEP_1) | instskip(SKIP_2) | instid1(VALU_DEP_1)
	v_rcp_iflag_f32_e32 v3, v3
	s_waitcnt_depctr 0xfff
	v_mul_f32_e32 v3, 0x4f7ffffe, v3
	v_cvt_u32_f32_e32 v3, v3
	s_delay_alu instid0(VALU_DEP_1) | instskip(NEXT) | instid1(VALU_DEP_1)
	v_mul_lo_u32 v11, s5, v3
	v_mul_hi_u32 v11, v3, v11
	s_delay_alu instid0(VALU_DEP_1) | instskip(NEXT) | instid1(VALU_DEP_1)
	v_add_nc_u32_e32 v3, v3, v11
	v_mul_hi_u32 v3, v10, v3
	s_delay_alu instid0(VALU_DEP_1) | instskip(NEXT) | instid1(VALU_DEP_1)
	v_mul_lo_u32 v11, v3, s22
	v_sub_nc_u32_e32 v11, v10, v11
	s_delay_alu instid0(VALU_DEP_1) | instskip(SKIP_1) | instid1(VALU_DEP_2)
	v_subrev_nc_u32_e32 v13, s22, v11
	v_cmp_le_u32_e32 vcc_lo, s22, v11
	v_dual_cndmask_b32 v11, v11, v13 :: v_dual_add_nc_u32 v12, 1, v3
	s_delay_alu instid0(VALU_DEP_1) | instskip(NEXT) | instid1(VALU_DEP_2)
	v_cndmask_b32_e32 v3, v3, v12, vcc_lo
	v_cmp_le_u32_e32 vcc_lo, s22, v11
	s_delay_alu instid0(VALU_DEP_2) | instskip(NEXT) | instid1(VALU_DEP_1)
	v_add_nc_u32_e32 v12, 1, v3
	v_cndmask_b32_e32 v12, v3, v12, vcc_lo
	s_branch .LBB0_2
.LBB0_17:
	s_or_b32 exec_lo, exec_lo, s1
	s_and_saveexec_b32 s0, s14
	s_delay_alu instid0(SALU_CYCLE_1)
	s_xor_b32 s0, exec_lo, s0
	s_cbranch_execnz .LBB0_19
.LBB0_18:
	s_nop 0
	s_sendmsg sendmsg(MSG_DEALLOC_VGPRS)
	s_endpgm
.LBB0_19:
	s_cbranch_execnz .LBB0_21
; %bb.20:
	; divergent unreachable
	s_nop 0
	s_sendmsg sendmsg(MSG_DEALLOC_VGPRS)
	s_endpgm
.LBB0_21:
	s_trap 2
	s_sendmsg_rtn_b32 s0, sendmsg(MSG_RTN_GET_DOORBELL)
	s_mov_b32 ttmp2, m0
	s_waitcnt lgkmcnt(0)
	s_and_b32 s0, s0, 0x3ff
	s_delay_alu instid0(SALU_CYCLE_1) | instskip(NEXT) | instid1(SALU_CYCLE_1)
	s_bitset1_b32 s0, 10
	s_mov_b32 m0, s0
	s_sendmsg sendmsg(MSG_INTERRUPT)
	s_mov_b32 m0, ttmp2
.LBB0_22:                               ; =>This Inner Loop Header: Depth=1
	s_sethalt 5
	s_branch .LBB0_22
	.section	.rodata,"a",@progbits
	.p2align	6, 0x0
	.amdhsa_kernel _ZN2at6native30max_unpooling2d_forward_kernelIhEEvlPKT_PKllllllPS2_
		.amdhsa_group_segment_fixed_size 0
		.amdhsa_private_segment_fixed_size 0
		.amdhsa_kernarg_size 328
		.amdhsa_user_sgpr_count 15
		.amdhsa_user_sgpr_dispatch_ptr 0
		.amdhsa_user_sgpr_queue_ptr 0
		.amdhsa_user_sgpr_kernarg_segment_ptr 1
		.amdhsa_user_sgpr_dispatch_id 0
		.amdhsa_user_sgpr_private_segment_size 0
		.amdhsa_wavefront_size32 1
		.amdhsa_uses_dynamic_stack 0
		.amdhsa_enable_private_segment 0
		.amdhsa_system_sgpr_workgroup_id_x 1
		.amdhsa_system_sgpr_workgroup_id_y 0
		.amdhsa_system_sgpr_workgroup_id_z 0
		.amdhsa_system_sgpr_workgroup_info 0
		.amdhsa_system_vgpr_workitem_id 0
		.amdhsa_next_free_vgpr 25
		.amdhsa_next_free_sgpr 32
		.amdhsa_reserve_vcc 1
		.amdhsa_float_round_mode_32 0
		.amdhsa_float_round_mode_16_64 0
		.amdhsa_float_denorm_mode_32 3
		.amdhsa_float_denorm_mode_16_64 3
		.amdhsa_dx10_clamp 1
		.amdhsa_ieee_mode 1
		.amdhsa_fp16_overflow 0
		.amdhsa_workgroup_processor_mode 1
		.amdhsa_memory_ordered 1
		.amdhsa_forward_progress 0
		.amdhsa_shared_vgpr_count 0
		.amdhsa_exception_fp_ieee_invalid_op 0
		.amdhsa_exception_fp_denorm_src 0
		.amdhsa_exception_fp_ieee_div_zero 0
		.amdhsa_exception_fp_ieee_overflow 0
		.amdhsa_exception_fp_ieee_underflow 0
		.amdhsa_exception_fp_ieee_inexact 0
		.amdhsa_exception_int_div_zero 0
	.end_amdhsa_kernel
	.section	.text._ZN2at6native30max_unpooling2d_forward_kernelIhEEvlPKT_PKllllllPS2_,"axG",@progbits,_ZN2at6native30max_unpooling2d_forward_kernelIhEEvlPKT_PKllllllPS2_,comdat
.Lfunc_end0:
	.size	_ZN2at6native30max_unpooling2d_forward_kernelIhEEvlPKT_PKllllllPS2_, .Lfunc_end0-_ZN2at6native30max_unpooling2d_forward_kernelIhEEvlPKT_PKllllllPS2_
                                        ; -- End function
	.section	.AMDGPU.csdata,"",@progbits
; Kernel info:
; codeLenInByte = 3528
; NumSgprs: 34
; NumVgprs: 25
; ScratchSize: 0
; MemoryBound: 0
; FloatMode: 240
; IeeeMode: 1
; LDSByteSize: 0 bytes/workgroup (compile time only)
; SGPRBlocks: 4
; VGPRBlocks: 3
; NumSGPRsForWavesPerEU: 34
; NumVGPRsForWavesPerEU: 25
; Occupancy: 16
; WaveLimiterHint : 1
; COMPUTE_PGM_RSRC2:SCRATCH_EN: 0
; COMPUTE_PGM_RSRC2:USER_SGPR: 15
; COMPUTE_PGM_RSRC2:TRAP_HANDLER: 0
; COMPUTE_PGM_RSRC2:TGID_X_EN: 1
; COMPUTE_PGM_RSRC2:TGID_Y_EN: 0
; COMPUTE_PGM_RSRC2:TGID_Z_EN: 0
; COMPUTE_PGM_RSRC2:TIDIG_COMP_CNT: 0
	.section	.text._ZN2at6native30max_unpooling2d_forward_kernelIaEEvlPKT_PKllllllPS2_,"axG",@progbits,_ZN2at6native30max_unpooling2d_forward_kernelIaEEvlPKT_PKllllllPS2_,comdat
	.protected	_ZN2at6native30max_unpooling2d_forward_kernelIaEEvlPKT_PKllllllPS2_ ; -- Begin function _ZN2at6native30max_unpooling2d_forward_kernelIaEEvlPKT_PKllllllPS2_
	.globl	_ZN2at6native30max_unpooling2d_forward_kernelIaEEvlPKT_PKllllllPS2_
	.p2align	8
	.type	_ZN2at6native30max_unpooling2d_forward_kernelIaEEvlPKT_PKllllllPS2_,@function
_ZN2at6native30max_unpooling2d_forward_kernelIaEEvlPKT_PKllllllPS2_: ; @_ZN2at6native30max_unpooling2d_forward_kernelIaEEvlPKT_PKllllllPS2_
; %bb.0:
	s_clause 0x1
	s_load_b32 s4, s[0:1], 0x54
	s_load_b512 s[16:31], s[0:1], 0x0
	v_mov_b32_e32 v2, 0
	s_add_u32 s2, s0, 0x48
	s_addc_u32 s3, s1, 0
	s_mov_b32 s5, exec_lo
	s_delay_alu instid0(VALU_DEP_1)
	v_mov_b32_e32 v1, v2
	s_waitcnt lgkmcnt(0)
	s_and_b32 s4, s4, 0xffff
	s_delay_alu instid0(VALU_DEP_1) | instid1(SALU_CYCLE_1)
	v_mad_u64_u32 v[4:5], null, s4, s15, v[0:1]
	s_delay_alu instid0(VALU_DEP_1)
	v_cmpx_gt_i64_e64 s[16:17], v[4:5]
	s_cbranch_execz .LBB1_18
; %bb.1:
	v_cvt_f32_u32_e32 v0, s26
	s_load_b64 s[6:7], s[0:1], 0x40
	s_load_b32 s5, s[2:3], 0x0
	s_sub_i32 s0, 0, s26
	s_mul_hi_u32 s3, s30, s28
	v_rcp_iflag_f32_e32 v0, v0
	s_mul_i32 s8, s31, s28
	s_mul_i32 s2, s30, s28
	s_mov_b32 s1, 0
                                        ; implicit-def: $sgpr14
                                        ; implicit-def: $sgpr28
                                        ; implicit-def: $sgpr15
	s_waitcnt_depctr 0xfff
	v_dual_mov_b32 v3, v4 :: v_dual_mul_f32 v0, 0x4f7ffffe, v0
	s_delay_alu instid0(VALU_DEP_1)
	v_cvt_u32_f32_e32 v0, v0
	s_waitcnt lgkmcnt(0)
	v_dual_mov_b32 v6, s6 :: v_dual_mov_b32 v7, s7
	s_mul_i32 s12, s5, s4
	s_ashr_i32 s4, s27, 31
	v_mul_lo_u32 v1, s0, v0
	s_mul_i32 s0, s30, s29
	s_mov_b32 s13, s12
	s_add_i32 s0, s3, s0
	s_ashr_i32 s6, s25, 31
	s_add_i32 s3, s0, s8
	s_delay_alu instid0(VALU_DEP_1) | instskip(NEXT) | instid1(VALU_DEP_1)
	v_mul_hi_u32 v1, v0, v1
	v_add_nc_u32_e32 v14, v0, v1
	v_dual_mov_b32 v0, v2 :: v_dual_mov_b32 v1, v3
	s_branch .LBB1_4
.LBB1_2:                                ;   in Loop: Header=BB1_4 Depth=1
	s_or_b32 exec_lo, exec_lo, s0
	v_add_co_u32 v16, vcc_lo, s18, v16
	v_add_co_ci_u32_e32 v17, vcc_lo, s19, v15, vcc_lo
	v_mul_lo_u32 v11, v12, s22
	v_ashrrev_i32_e32 v13, 31, v12
	v_add_co_u32 v4, vcc_lo, v4, s12
	global_load_u8 v3, v[16:17], off
	v_add_co_ci_u32_e32 v5, vcc_lo, 0, v5, vcc_lo
	v_add_co_u32 v0, s0, v0, 0
	v_sub_nc_u32_e32 v10, v10, v11
	v_add_co_ci_u32_e64 v1, s0, s13, v1, s0
	s_and_not1_b32 s0, s28, exec_lo
	s_and_not1_b32 s15, s15, exec_lo
	s_delay_alu instid0(VALU_DEP_2) | instskip(NEXT) | instid1(VALU_DEP_1)
	v_ashrrev_i32_e32 v11, 31, v10
	v_mad_u64_u32 v[15:16], null, v12, s22, v[10:11]
	v_mul_lo_u32 v10, v12, s23
	v_mul_lo_u32 v11, v13, s22
	s_delay_alu instid0(VALU_DEP_3) | instskip(NEXT) | instid1(VALU_DEP_2)
	v_mul_lo_u32 v12, s3, v15
	v_add3_u32 v10, v11, v16, v10
	s_delay_alu instid0(VALU_DEP_1) | instskip(SKIP_1) | instid1(VALU_DEP_1)
	v_mul_lo_u32 v13, s2, v10
	v_mad_u64_u32 v[10:11], null, s2, v15, v[6:7]
	v_add3_u32 v11, v12, v11, v13
	s_delay_alu instid0(VALU_DEP_2) | instskip(NEXT) | instid1(VALU_DEP_2)
	v_add_co_u32 v8, vcc_lo, v10, v8
	v_dual_mov_b32 v6, v10 :: v_dual_mov_b32 v7, v11
	v_add_co_ci_u32_e32 v9, vcc_lo, v11, v9, vcc_lo
	v_cmp_le_i64_e32 vcc_lo, s[16:17], v[4:5]
	s_and_b32 s5, vcc_lo, exec_lo
	s_delay_alu instid0(SALU_CYCLE_1)
	s_or_b32 s28, s0, s5
	s_waitcnt vmcnt(0)
	global_store_b8 v[8:9], v3, off
.LBB1_3:                                ;   in Loop: Header=BB1_4 Depth=1
	s_or_b32 exec_lo, exec_lo, s29
	s_delay_alu instid0(SALU_CYCLE_1) | instskip(NEXT) | instid1(SALU_CYCLE_1)
	s_and_b32 s0, exec_lo, s28
	s_or_b32 s1, s0, s1
	s_and_not1_b32 s0, s14, exec_lo
	s_and_b32 s5, s15, exec_lo
	s_delay_alu instid0(SALU_CYCLE_1)
	s_or_b32 s14, s0, s5
	s_and_not1_b32 exec_lo, exec_lo, s1
	s_cbranch_execz .LBB1_17
.LBB1_4:                                ; =>This Inner Loop Header: Depth=1
	s_delay_alu instid0(VALU_DEP_1) | instskip(SKIP_2) | instid1(VALU_DEP_1)
	v_ashrrev_i64 v[8:9], 29, v[0:1]
	s_or_b32 s15, s15, exec_lo
	s_or_b32 s28, s28, exec_lo
	v_add_co_u32 v8, vcc_lo, s20, v8
	s_delay_alu instid0(VALU_DEP_2) | instskip(SKIP_4) | instid1(VALU_DEP_2)
	v_add_co_ci_u32_e32 v9, vcc_lo, s21, v9, vcc_lo
	global_load_b64 v[8:9], v[8:9], off
	s_waitcnt vmcnt(0)
	v_ashrrev_i32_e32 v9, 31, v8
	v_cmp_lt_i32_e64 s0, -1, v8
	v_cmp_gt_i64_e32 vcc_lo, s[2:3], v[8:9]
	s_delay_alu instid0(VALU_DEP_2) | instskip(NEXT) | instid1(SALU_CYCLE_1)
	s_and_b32 s0, s0, vcc_lo
	s_and_saveexec_b32 s29, s0
	s_cbranch_execz .LBB1_3
; %bb.5:                                ;   in Loop: Header=BB1_4 Depth=1
	v_ashrrev_i32_e32 v15, 31, v1
	v_mov_b32_e32 v16, v1
                                        ; implicit-def: $vgpr12_vgpr13
	s_mov_b32 s0, exec_lo
	s_delay_alu instid0(VALU_DEP_2) | instskip(NEXT) | instid1(VALU_DEP_1)
	v_or_b32_e32 v3, s27, v15
	v_cmpx_ne_u64_e32 0, v[2:3]
	s_xor_b32 s7, exec_lo, s0
	s_cbranch_execz .LBB1_7
; %bb.6:                                ;   in Loop: Header=BB1_4 Depth=1
	s_add_u32 s8, s26, s4
	s_mov_b32 s5, s4
	s_addc_u32 s9, s27, s4
	s_delay_alu instid0(SALU_CYCLE_1) | instskip(NEXT) | instid1(SALU_CYCLE_1)
	s_xor_b64 s[8:9], s[8:9], s[4:5]
	v_cvt_f32_u32_e32 v3, s8
	v_cvt_f32_u32_e32 v10, s9
	s_sub_u32 s0, 0, s8
	s_subb_u32 s5, 0, s9
	s_delay_alu instid0(VALU_DEP_1) | instskip(NEXT) | instid1(VALU_DEP_1)
	v_fmac_f32_e32 v3, 0x4f800000, v10
	v_rcp_f32_e32 v3, v3
	s_waitcnt_depctr 0xfff
	v_mul_f32_e32 v3, 0x5f7ffffc, v3
	s_delay_alu instid0(VALU_DEP_1) | instskip(NEXT) | instid1(VALU_DEP_1)
	v_mul_f32_e32 v10, 0x2f800000, v3
	v_trunc_f32_e32 v10, v10
	s_delay_alu instid0(VALU_DEP_1) | instskip(SKIP_1) | instid1(VALU_DEP_2)
	v_fmac_f32_e32 v3, 0xcf800000, v10
	v_cvt_u32_f32_e32 v10, v10
	v_cvt_u32_f32_e32 v3, v3
	s_delay_alu instid0(VALU_DEP_2) | instskip(NEXT) | instid1(VALU_DEP_2)
	v_mul_lo_u32 v11, s0, v10
	v_mul_hi_u32 v12, s0, v3
	v_mul_lo_u32 v13, s5, v3
	s_delay_alu instid0(VALU_DEP_2) | instskip(SKIP_1) | instid1(VALU_DEP_2)
	v_add_nc_u32_e32 v11, v12, v11
	v_mul_lo_u32 v12, s0, v3
	v_add_nc_u32_e32 v11, v11, v13
	s_delay_alu instid0(VALU_DEP_2) | instskip(NEXT) | instid1(VALU_DEP_2)
	v_mul_hi_u32 v13, v3, v12
	v_mul_lo_u32 v17, v3, v11
	v_mul_hi_u32 v18, v3, v11
	v_mul_hi_u32 v19, v10, v12
	v_mul_lo_u32 v12, v10, v12
	v_mul_hi_u32 v20, v10, v11
	v_mul_lo_u32 v11, v10, v11
	v_add_co_u32 v13, vcc_lo, v13, v17
	v_add_co_ci_u32_e32 v17, vcc_lo, 0, v18, vcc_lo
	s_delay_alu instid0(VALU_DEP_2) | instskip(NEXT) | instid1(VALU_DEP_2)
	v_add_co_u32 v12, vcc_lo, v13, v12
	v_add_co_ci_u32_e32 v12, vcc_lo, v17, v19, vcc_lo
	v_add_co_ci_u32_e32 v13, vcc_lo, 0, v20, vcc_lo
	v_ashrrev_i32_e32 v19, 31, v15
	s_delay_alu instid0(VALU_DEP_3) | instskip(NEXT) | instid1(VALU_DEP_3)
	v_add_co_u32 v11, vcc_lo, v12, v11
	v_add_co_ci_u32_e32 v12, vcc_lo, 0, v13, vcc_lo
	s_delay_alu instid0(VALU_DEP_2) | instskip(NEXT) | instid1(VALU_DEP_2)
	v_add_co_u32 v3, vcc_lo, v3, v11
	v_add_co_ci_u32_e32 v10, vcc_lo, v10, v12, vcc_lo
	s_delay_alu instid0(VALU_DEP_2) | instskip(SKIP_1) | instid1(VALU_DEP_3)
	v_mul_hi_u32 v11, s0, v3
	v_mul_lo_u32 v13, s5, v3
	v_mul_lo_u32 v12, s0, v10
	s_delay_alu instid0(VALU_DEP_1) | instskip(SKIP_1) | instid1(VALU_DEP_2)
	v_add_nc_u32_e32 v11, v11, v12
	v_mul_lo_u32 v12, s0, v3
	v_add_nc_u32_e32 v11, v11, v13
	s_delay_alu instid0(VALU_DEP_2) | instskip(NEXT) | instid1(VALU_DEP_2)
	v_mul_hi_u32 v13, v3, v12
	v_mul_lo_u32 v17, v3, v11
	v_mul_hi_u32 v18, v3, v11
	v_mul_hi_u32 v20, v10, v12
	v_mul_lo_u32 v12, v10, v12
	v_mul_hi_u32 v21, v10, v11
	v_mul_lo_u32 v11, v10, v11
	v_add_co_u32 v13, vcc_lo, v13, v17
	v_add_co_ci_u32_e32 v17, vcc_lo, 0, v18, vcc_lo
	s_delay_alu instid0(VALU_DEP_2) | instskip(NEXT) | instid1(VALU_DEP_2)
	v_add_co_u32 v12, vcc_lo, v13, v12
	v_add_co_ci_u32_e32 v12, vcc_lo, v17, v20, vcc_lo
	v_add_co_ci_u32_e32 v13, vcc_lo, 0, v21, vcc_lo
	v_add_co_u32 v17, vcc_lo, v16, v19
	v_add_co_ci_u32_e32 v18, vcc_lo, v15, v19, vcc_lo
	s_delay_alu instid0(VALU_DEP_4) | instskip(NEXT) | instid1(VALU_DEP_4)
	v_add_co_u32 v11, vcc_lo, v12, v11
	v_add_co_ci_u32_e32 v12, vcc_lo, 0, v13, vcc_lo
	s_delay_alu instid0(VALU_DEP_4) | instskip(NEXT) | instid1(VALU_DEP_3)
	v_xor_b32_e32 v20, v17, v19
	v_add_co_u32 v3, vcc_lo, v3, v11
	s_delay_alu instid0(VALU_DEP_3) | instskip(SKIP_1) | instid1(VALU_DEP_3)
	v_add_co_ci_u32_e32 v21, vcc_lo, v10, v12, vcc_lo
	v_xor_b32_e32 v22, v18, v19
	v_mul_hi_u32 v23, v20, v3
	s_delay_alu instid0(VALU_DEP_3) | instskip(NEXT) | instid1(VALU_DEP_3)
	v_mad_u64_u32 v[10:11], null, v20, v21, 0
	v_mad_u64_u32 v[12:13], null, v22, v3, 0
	;; [unrolled: 1-line block ×3, first 2 shown]
	s_delay_alu instid0(VALU_DEP_3) | instskip(NEXT) | instid1(VALU_DEP_4)
	v_add_co_u32 v3, vcc_lo, v23, v10
	v_add_co_ci_u32_e32 v10, vcc_lo, 0, v11, vcc_lo
	s_delay_alu instid0(VALU_DEP_2) | instskip(NEXT) | instid1(VALU_DEP_2)
	v_add_co_u32 v3, vcc_lo, v3, v12
	v_add_co_ci_u32_e32 v3, vcc_lo, v10, v13, vcc_lo
	v_add_co_ci_u32_e32 v10, vcc_lo, 0, v18, vcc_lo
	s_delay_alu instid0(VALU_DEP_2) | instskip(NEXT) | instid1(VALU_DEP_2)
	v_add_co_u32 v3, vcc_lo, v3, v17
	v_add_co_ci_u32_e32 v12, vcc_lo, 0, v10, vcc_lo
	s_delay_alu instid0(VALU_DEP_2) | instskip(SKIP_1) | instid1(VALU_DEP_3)
	v_mul_lo_u32 v13, s9, v3
	v_mad_u64_u32 v[10:11], null, s8, v3, 0
	v_mul_lo_u32 v17, s8, v12
	s_delay_alu instid0(VALU_DEP_2) | instskip(NEXT) | instid1(VALU_DEP_2)
	v_sub_co_u32 v10, vcc_lo, v20, v10
	v_add3_u32 v11, v11, v17, v13
	s_delay_alu instid0(VALU_DEP_1) | instskip(NEXT) | instid1(VALU_DEP_1)
	v_sub_nc_u32_e32 v13, v22, v11
	v_subrev_co_ci_u32_e64 v13, s0, s9, v13, vcc_lo
	v_add_co_u32 v17, s0, v3, 2
	s_delay_alu instid0(VALU_DEP_1) | instskip(SKIP_3) | instid1(VALU_DEP_3)
	v_add_co_ci_u32_e64 v18, s0, 0, v12, s0
	v_sub_co_u32 v20, s0, v10, s8
	v_sub_co_ci_u32_e32 v11, vcc_lo, v22, v11, vcc_lo
	v_subrev_co_ci_u32_e64 v13, s0, 0, v13, s0
	v_cmp_le_u32_e32 vcc_lo, s8, v20
	s_delay_alu instid0(VALU_DEP_3) | instskip(SKIP_1) | instid1(VALU_DEP_4)
	v_cmp_eq_u32_e64 s0, s9, v11
	v_cndmask_b32_e64 v20, 0, -1, vcc_lo
	v_cmp_le_u32_e32 vcc_lo, s9, v13
	v_cndmask_b32_e64 v21, 0, -1, vcc_lo
	v_cmp_le_u32_e32 vcc_lo, s8, v10
	;; [unrolled: 2-line block ×3, first 2 shown]
	v_cndmask_b32_e64 v22, 0, -1, vcc_lo
	v_cmp_eq_u32_e32 vcc_lo, s9, v13
	s_delay_alu instid0(VALU_DEP_2) | instskip(SKIP_3) | instid1(VALU_DEP_3)
	v_cndmask_b32_e64 v10, v22, v10, s0
	v_cndmask_b32_e32 v13, v21, v20, vcc_lo
	v_add_co_u32 v20, vcc_lo, v3, 1
	v_add_co_ci_u32_e32 v21, vcc_lo, 0, v12, vcc_lo
	v_cmp_ne_u32_e32 vcc_lo, 0, v13
	s_delay_alu instid0(VALU_DEP_2) | instskip(NEXT) | instid1(VALU_DEP_4)
	v_cndmask_b32_e32 v11, v21, v18, vcc_lo
	v_cndmask_b32_e32 v13, v20, v17, vcc_lo
	v_cmp_ne_u32_e32 vcc_lo, 0, v10
	v_xor_b32_e32 v10, s4, v19
	s_delay_alu instid0(VALU_DEP_3) | instskip(SKIP_1) | instid1(VALU_DEP_2)
	v_cndmask_b32_e32 v3, v3, v13, vcc_lo
	v_cndmask_b32_e32 v11, v12, v11, vcc_lo
	v_xor_b32_e32 v3, v3, v10
	s_delay_alu instid0(VALU_DEP_2) | instskip(NEXT) | instid1(VALU_DEP_2)
	v_xor_b32_e32 v11, v11, v10
	v_sub_co_u32 v12, vcc_lo, v3, v10
	s_delay_alu instid0(VALU_DEP_2)
	v_sub_co_ci_u32_e32 v13, vcc_lo, v11, v10, vcc_lo
.LBB1_7:                                ;   in Loop: Header=BB1_4 Depth=1
	s_and_not1_saveexec_b32 s0, s7
; %bb.8:                                ;   in Loop: Header=BB1_4 Depth=1
	v_mul_hi_u32 v3, v1, v14
	v_mov_b32_e32 v13, v2
	s_delay_alu instid0(VALU_DEP_2) | instskip(NEXT) | instid1(VALU_DEP_1)
	v_mul_lo_u32 v10, v3, s26
	v_sub_nc_u32_e32 v10, v1, v10
	s_delay_alu instid0(VALU_DEP_1) | instskip(SKIP_1) | instid1(VALU_DEP_2)
	v_subrev_nc_u32_e32 v12, s26, v10
	v_cmp_le_u32_e32 vcc_lo, s26, v10
	v_dual_cndmask_b32 v10, v10, v12 :: v_dual_add_nc_u32 v11, 1, v3
	s_delay_alu instid0(VALU_DEP_1) | instskip(NEXT) | instid1(VALU_DEP_2)
	v_cndmask_b32_e32 v3, v3, v11, vcc_lo
	v_cmp_le_u32_e32 vcc_lo, s26, v10
	s_delay_alu instid0(VALU_DEP_2) | instskip(NEXT) | instid1(VALU_DEP_1)
	v_add_nc_u32_e32 v11, 1, v3
	v_cndmask_b32_e32 v12, v3, v11, vcc_lo
; %bb.9:                                ;   in Loop: Header=BB1_4 Depth=1
	s_or_b32 exec_lo, exec_lo, s0
	v_or_b32_e32 v3, s25, v13
                                        ; implicit-def: $vgpr10_vgpr11
	s_mov_b32 s0, exec_lo
	s_delay_alu instid0(VALU_DEP_1)
	v_cmpx_ne_u64_e32 0, v[2:3]
	s_xor_b32 s5, exec_lo, s0
	s_cbranch_execz .LBB1_11
; %bb.10:                               ;   in Loop: Header=BB1_4 Depth=1
	s_add_u32 s8, s24, s6
	s_mov_b32 s7, s6
	s_addc_u32 s9, s25, s6
	s_delay_alu instid0(SALU_CYCLE_1) | instskip(NEXT) | instid1(SALU_CYCLE_1)
	s_xor_b64 s[8:9], s[8:9], s[6:7]
	v_cvt_f32_u32_e32 v3, s8
	v_cvt_f32_u32_e32 v10, s9
	s_sub_u32 s0, 0, s8
	s_subb_u32 s7, 0, s9
	s_delay_alu instid0(VALU_DEP_1) | instskip(NEXT) | instid1(VALU_DEP_1)
	v_fmac_f32_e32 v3, 0x4f800000, v10
	v_rcp_f32_e32 v3, v3
	s_waitcnt_depctr 0xfff
	v_mul_f32_e32 v3, 0x5f7ffffc, v3
	s_delay_alu instid0(VALU_DEP_1) | instskip(NEXT) | instid1(VALU_DEP_1)
	v_mul_f32_e32 v10, 0x2f800000, v3
	v_trunc_f32_e32 v10, v10
	s_delay_alu instid0(VALU_DEP_1) | instskip(SKIP_1) | instid1(VALU_DEP_2)
	v_fmac_f32_e32 v3, 0xcf800000, v10
	v_cvt_u32_f32_e32 v10, v10
	v_cvt_u32_f32_e32 v3, v3
	s_delay_alu instid0(VALU_DEP_2) | instskip(NEXT) | instid1(VALU_DEP_2)
	v_mul_lo_u32 v11, s0, v10
	v_mul_hi_u32 v17, s0, v3
	v_mul_lo_u32 v18, s7, v3
	s_delay_alu instid0(VALU_DEP_2) | instskip(SKIP_1) | instid1(VALU_DEP_2)
	v_add_nc_u32_e32 v11, v17, v11
	v_mul_lo_u32 v17, s0, v3
	v_add_nc_u32_e32 v11, v11, v18
	s_delay_alu instid0(VALU_DEP_2) | instskip(NEXT) | instid1(VALU_DEP_2)
	v_mul_hi_u32 v18, v3, v17
	v_mul_lo_u32 v19, v3, v11
	v_mul_hi_u32 v20, v3, v11
	v_mul_hi_u32 v21, v10, v17
	v_mul_lo_u32 v17, v10, v17
	v_mul_hi_u32 v22, v10, v11
	v_mul_lo_u32 v11, v10, v11
	v_add_co_u32 v18, vcc_lo, v18, v19
	v_add_co_ci_u32_e32 v19, vcc_lo, 0, v20, vcc_lo
	s_delay_alu instid0(VALU_DEP_2) | instskip(NEXT) | instid1(VALU_DEP_2)
	v_add_co_u32 v17, vcc_lo, v18, v17
	v_add_co_ci_u32_e32 v17, vcc_lo, v19, v21, vcc_lo
	v_add_co_ci_u32_e32 v18, vcc_lo, 0, v22, vcc_lo
	v_ashrrev_i32_e32 v21, 31, v13
	s_delay_alu instid0(VALU_DEP_3) | instskip(NEXT) | instid1(VALU_DEP_3)
	v_add_co_u32 v11, vcc_lo, v17, v11
	v_add_co_ci_u32_e32 v17, vcc_lo, 0, v18, vcc_lo
	s_delay_alu instid0(VALU_DEP_2) | instskip(NEXT) | instid1(VALU_DEP_2)
	v_add_co_u32 v3, vcc_lo, v3, v11
	v_add_co_ci_u32_e32 v10, vcc_lo, v10, v17, vcc_lo
	s_delay_alu instid0(VALU_DEP_2) | instskip(SKIP_1) | instid1(VALU_DEP_3)
	v_mul_hi_u32 v11, s0, v3
	v_mul_lo_u32 v18, s7, v3
	v_mul_lo_u32 v17, s0, v10
	s_delay_alu instid0(VALU_DEP_1) | instskip(SKIP_1) | instid1(VALU_DEP_2)
	v_add_nc_u32_e32 v11, v11, v17
	v_mul_lo_u32 v17, s0, v3
	v_add_nc_u32_e32 v11, v11, v18
	s_delay_alu instid0(VALU_DEP_2) | instskip(NEXT) | instid1(VALU_DEP_2)
	v_mul_hi_u32 v18, v3, v17
	v_mul_lo_u32 v19, v3, v11
	v_mul_hi_u32 v20, v3, v11
	v_mul_hi_u32 v22, v10, v17
	v_mul_lo_u32 v17, v10, v17
	v_mul_hi_u32 v23, v10, v11
	v_mul_lo_u32 v11, v10, v11
	v_add_co_u32 v18, vcc_lo, v18, v19
	v_add_co_ci_u32_e32 v19, vcc_lo, 0, v20, vcc_lo
	s_delay_alu instid0(VALU_DEP_2) | instskip(NEXT) | instid1(VALU_DEP_2)
	v_add_co_u32 v17, vcc_lo, v18, v17
	v_add_co_ci_u32_e32 v17, vcc_lo, v19, v22, vcc_lo
	v_add_co_ci_u32_e32 v18, vcc_lo, 0, v23, vcc_lo
	v_add_co_u32 v12, vcc_lo, v12, v21
	v_add_co_ci_u32_e32 v13, vcc_lo, v13, v21, vcc_lo
	s_delay_alu instid0(VALU_DEP_4) | instskip(NEXT) | instid1(VALU_DEP_4)
	v_add_co_u32 v11, vcc_lo, v17, v11
	v_add_co_ci_u32_e32 v17, vcc_lo, 0, v18, vcc_lo
	s_delay_alu instid0(VALU_DEP_4) | instskip(NEXT) | instid1(VALU_DEP_3)
	v_xor_b32_e32 v19, v12, v21
	v_add_co_u32 v3, vcc_lo, v3, v11
	s_delay_alu instid0(VALU_DEP_3) | instskip(SKIP_1) | instid1(VALU_DEP_3)
	v_add_co_ci_u32_e32 v20, vcc_lo, v10, v17, vcc_lo
	v_xor_b32_e32 v22, v13, v21
	v_mul_hi_u32 v23, v19, v3
	s_delay_alu instid0(VALU_DEP_3) | instskip(NEXT) | instid1(VALU_DEP_3)
	v_mad_u64_u32 v[10:11], null, v19, v20, 0
	v_mad_u64_u32 v[12:13], null, v22, v3, 0
	;; [unrolled: 1-line block ×3, first 2 shown]
	s_delay_alu instid0(VALU_DEP_3) | instskip(NEXT) | instid1(VALU_DEP_4)
	v_add_co_u32 v3, vcc_lo, v23, v10
	v_add_co_ci_u32_e32 v10, vcc_lo, 0, v11, vcc_lo
	s_delay_alu instid0(VALU_DEP_2) | instskip(NEXT) | instid1(VALU_DEP_2)
	v_add_co_u32 v3, vcc_lo, v3, v12
	v_add_co_ci_u32_e32 v3, vcc_lo, v10, v13, vcc_lo
	v_add_co_ci_u32_e32 v10, vcc_lo, 0, v18, vcc_lo
	s_delay_alu instid0(VALU_DEP_2) | instskip(NEXT) | instid1(VALU_DEP_2)
	v_add_co_u32 v3, vcc_lo, v3, v17
	v_add_co_ci_u32_e32 v12, vcc_lo, 0, v10, vcc_lo
	s_delay_alu instid0(VALU_DEP_2) | instskip(SKIP_1) | instid1(VALU_DEP_3)
	v_mul_lo_u32 v13, s9, v3
	v_mad_u64_u32 v[10:11], null, s8, v3, 0
	v_mul_lo_u32 v17, s8, v12
	s_delay_alu instid0(VALU_DEP_2) | instskip(NEXT) | instid1(VALU_DEP_2)
	v_sub_co_u32 v10, vcc_lo, v19, v10
	v_add3_u32 v11, v11, v17, v13
	s_delay_alu instid0(VALU_DEP_1) | instskip(NEXT) | instid1(VALU_DEP_1)
	v_sub_nc_u32_e32 v13, v22, v11
	v_subrev_co_ci_u32_e64 v13, s0, s9, v13, vcc_lo
	v_add_co_u32 v17, s0, v3, 2
	s_delay_alu instid0(VALU_DEP_1) | instskip(SKIP_3) | instid1(VALU_DEP_3)
	v_add_co_ci_u32_e64 v18, s0, 0, v12, s0
	v_sub_co_u32 v19, s0, v10, s8
	v_sub_co_ci_u32_e32 v11, vcc_lo, v22, v11, vcc_lo
	v_subrev_co_ci_u32_e64 v13, s0, 0, v13, s0
	v_cmp_le_u32_e32 vcc_lo, s8, v19
	s_delay_alu instid0(VALU_DEP_3) | instskip(SKIP_1) | instid1(VALU_DEP_4)
	v_cmp_eq_u32_e64 s0, s9, v11
	v_cndmask_b32_e64 v19, 0, -1, vcc_lo
	v_cmp_le_u32_e32 vcc_lo, s9, v13
	v_cndmask_b32_e64 v20, 0, -1, vcc_lo
	v_cmp_le_u32_e32 vcc_lo, s8, v10
	;; [unrolled: 2-line block ×3, first 2 shown]
	v_cndmask_b32_e64 v22, 0, -1, vcc_lo
	v_cmp_eq_u32_e32 vcc_lo, s9, v13
	s_delay_alu instid0(VALU_DEP_2) | instskip(SKIP_3) | instid1(VALU_DEP_3)
	v_cndmask_b32_e64 v10, v22, v10, s0
	v_cndmask_b32_e32 v13, v20, v19, vcc_lo
	v_add_co_u32 v19, vcc_lo, v3, 1
	v_add_co_ci_u32_e32 v20, vcc_lo, 0, v12, vcc_lo
	v_cmp_ne_u32_e32 vcc_lo, 0, v13
	s_delay_alu instid0(VALU_DEP_2) | instskip(NEXT) | instid1(VALU_DEP_4)
	v_cndmask_b32_e32 v11, v20, v18, vcc_lo
	v_cndmask_b32_e32 v13, v19, v17, vcc_lo
	v_cmp_ne_u32_e32 vcc_lo, 0, v10
	v_xor_b32_e32 v17, s6, v21
	s_delay_alu instid0(VALU_DEP_3) | instskip(NEXT) | instid1(VALU_DEP_1)
	v_dual_cndmask_b32 v3, v3, v13 :: v_dual_cndmask_b32 v10, v12, v11
                                        ; implicit-def: $vgpr12_vgpr13
	v_xor_b32_e32 v3, v3, v17
	s_delay_alu instid0(VALU_DEP_2) | instskip(NEXT) | instid1(VALU_DEP_2)
	v_xor_b32_e32 v11, v10, v17
	v_sub_co_u32 v10, vcc_lo, v3, v17
	s_delay_alu instid0(VALU_DEP_2)
	v_sub_co_ci_u32_e32 v11, vcc_lo, v11, v17, vcc_lo
.LBB1_11:                               ;   in Loop: Header=BB1_4 Depth=1
	s_and_not1_saveexec_b32 s0, s5
	s_cbranch_execz .LBB1_13
; %bb.12:                               ;   in Loop: Header=BB1_4 Depth=1
	v_cvt_f32_u32_e32 v3, s24
	s_sub_i32 s5, 0, s24
	s_delay_alu instid0(VALU_DEP_1) | instskip(SKIP_2) | instid1(VALU_DEP_1)
	v_rcp_iflag_f32_e32 v3, v3
	s_waitcnt_depctr 0xfff
	v_mul_f32_e32 v3, 0x4f7ffffe, v3
	v_cvt_u32_f32_e32 v3, v3
	s_delay_alu instid0(VALU_DEP_1) | instskip(NEXT) | instid1(VALU_DEP_1)
	v_mul_lo_u32 v10, s5, v3
	v_mul_hi_u32 v10, v3, v10
	s_delay_alu instid0(VALU_DEP_1) | instskip(NEXT) | instid1(VALU_DEP_1)
	v_add_nc_u32_e32 v3, v3, v10
	v_mul_hi_u32 v3, v12, v3
	s_delay_alu instid0(VALU_DEP_1) | instskip(SKIP_1) | instid1(VALU_DEP_2)
	v_mul_lo_u32 v10, v3, s24
	v_add_nc_u32_e32 v11, 1, v3
	v_sub_nc_u32_e32 v10, v12, v10
	s_delay_alu instid0(VALU_DEP_1) | instskip(SKIP_1) | instid1(VALU_DEP_2)
	v_subrev_nc_u32_e32 v12, s24, v10
	v_cmp_le_u32_e32 vcc_lo, s24, v10
	v_dual_cndmask_b32 v10, v10, v12 :: v_dual_cndmask_b32 v3, v3, v11
	s_delay_alu instid0(VALU_DEP_1) | instskip(NEXT) | instid1(VALU_DEP_2)
	v_cmp_le_u32_e32 vcc_lo, s24, v10
	v_add_nc_u32_e32 v11, 1, v3
	s_delay_alu instid0(VALU_DEP_1)
	v_dual_cndmask_b32 v10, v3, v11 :: v_dual_mov_b32 v11, v2
.LBB1_13:                               ;   in Loop: Header=BB1_4 Depth=1
	s_or_b32 exec_lo, exec_lo, s0
	s_delay_alu instid0(VALU_DEP_1) | instskip(SKIP_1) | instid1(VALU_DEP_1)
	v_or_b32_e32 v3, s23, v11
                                        ; implicit-def: $vgpr12_vgpr13
	s_mov_b32 s0, exec_lo
	v_cmpx_ne_u64_e32 0, v[2:3]
	s_xor_b32 s5, exec_lo, s0
	s_cbranch_execz .LBB1_15
; %bb.14:                               ;   in Loop: Header=BB1_4 Depth=1
	s_ashr_i32 s8, s23, 31
	s_delay_alu instid0(SALU_CYCLE_1) | instskip(SKIP_2) | instid1(SALU_CYCLE_1)
	s_add_u32 s10, s22, s8
	s_mov_b32 s9, s8
	s_addc_u32 s11, s23, s8
	s_xor_b64 s[10:11], s[10:11], s[8:9]
	s_delay_alu instid0(SALU_CYCLE_1) | instskip(SKIP_3) | instid1(VALU_DEP_1)
	v_cvt_f32_u32_e32 v3, s10
	v_cvt_f32_u32_e32 v12, s11
	s_sub_u32 s0, 0, s10
	s_subb_u32 s7, 0, s11
	v_fmac_f32_e32 v3, 0x4f800000, v12
	s_delay_alu instid0(VALU_DEP_1) | instskip(SKIP_2) | instid1(VALU_DEP_1)
	v_rcp_f32_e32 v3, v3
	s_waitcnt_depctr 0xfff
	v_mul_f32_e32 v3, 0x5f7ffffc, v3
	v_mul_f32_e32 v12, 0x2f800000, v3
	s_delay_alu instid0(VALU_DEP_1) | instskip(NEXT) | instid1(VALU_DEP_1)
	v_trunc_f32_e32 v12, v12
	v_fmac_f32_e32 v3, 0xcf800000, v12
	v_cvt_u32_f32_e32 v12, v12
	s_delay_alu instid0(VALU_DEP_2) | instskip(NEXT) | instid1(VALU_DEP_2)
	v_cvt_u32_f32_e32 v3, v3
	v_mul_lo_u32 v13, s0, v12
	s_delay_alu instid0(VALU_DEP_2) | instskip(SKIP_1) | instid1(VALU_DEP_2)
	v_mul_hi_u32 v17, s0, v3
	v_mul_lo_u32 v18, s7, v3
	v_add_nc_u32_e32 v13, v17, v13
	v_mul_lo_u32 v17, s0, v3
	s_delay_alu instid0(VALU_DEP_2) | instskip(NEXT) | instid1(VALU_DEP_2)
	v_add_nc_u32_e32 v13, v13, v18
	v_mul_hi_u32 v18, v3, v17
	s_delay_alu instid0(VALU_DEP_2)
	v_mul_lo_u32 v19, v3, v13
	v_mul_hi_u32 v20, v3, v13
	v_mul_hi_u32 v21, v12, v17
	v_mul_lo_u32 v17, v12, v17
	v_mul_hi_u32 v22, v12, v13
	v_mul_lo_u32 v13, v12, v13
	v_add_co_u32 v18, vcc_lo, v18, v19
	v_add_co_ci_u32_e32 v19, vcc_lo, 0, v20, vcc_lo
	s_delay_alu instid0(VALU_DEP_2) | instskip(NEXT) | instid1(VALU_DEP_2)
	v_add_co_u32 v17, vcc_lo, v18, v17
	v_add_co_ci_u32_e32 v17, vcc_lo, v19, v21, vcc_lo
	v_add_co_ci_u32_e32 v18, vcc_lo, 0, v22, vcc_lo
	v_ashrrev_i32_e32 v21, 31, v11
	s_delay_alu instid0(VALU_DEP_3) | instskip(NEXT) | instid1(VALU_DEP_3)
	v_add_co_u32 v13, vcc_lo, v17, v13
	v_add_co_ci_u32_e32 v17, vcc_lo, 0, v18, vcc_lo
	s_delay_alu instid0(VALU_DEP_2) | instskip(NEXT) | instid1(VALU_DEP_2)
	v_add_co_u32 v3, vcc_lo, v3, v13
	v_add_co_ci_u32_e32 v12, vcc_lo, v12, v17, vcc_lo
	s_delay_alu instid0(VALU_DEP_2) | instskip(SKIP_1) | instid1(VALU_DEP_3)
	v_mul_hi_u32 v13, s0, v3
	v_mul_lo_u32 v18, s7, v3
	v_mul_lo_u32 v17, s0, v12
	s_delay_alu instid0(VALU_DEP_1) | instskip(SKIP_1) | instid1(VALU_DEP_2)
	v_add_nc_u32_e32 v13, v13, v17
	v_mul_lo_u32 v17, s0, v3
	v_add_nc_u32_e32 v13, v13, v18
	s_delay_alu instid0(VALU_DEP_2) | instskip(NEXT) | instid1(VALU_DEP_2)
	v_mul_hi_u32 v18, v3, v17
	v_mul_lo_u32 v19, v3, v13
	v_mul_hi_u32 v20, v3, v13
	v_mul_hi_u32 v22, v12, v17
	v_mul_lo_u32 v17, v12, v17
	v_mul_hi_u32 v23, v12, v13
	v_mul_lo_u32 v13, v12, v13
	v_add_co_u32 v18, vcc_lo, v18, v19
	v_add_co_ci_u32_e32 v19, vcc_lo, 0, v20, vcc_lo
	s_delay_alu instid0(VALU_DEP_2) | instskip(NEXT) | instid1(VALU_DEP_2)
	v_add_co_u32 v17, vcc_lo, v18, v17
	v_add_co_ci_u32_e32 v17, vcc_lo, v19, v22, vcc_lo
	v_add_co_ci_u32_e32 v18, vcc_lo, 0, v23, vcc_lo
	v_add_co_u32 v19, vcc_lo, v10, v21
	v_add_co_ci_u32_e32 v11, vcc_lo, v11, v21, vcc_lo
	s_delay_alu instid0(VALU_DEP_4) | instskip(NEXT) | instid1(VALU_DEP_4)
	v_add_co_u32 v13, vcc_lo, v17, v13
	v_add_co_ci_u32_e32 v17, vcc_lo, 0, v18, vcc_lo
	s_delay_alu instid0(VALU_DEP_4) | instskip(NEXT) | instid1(VALU_DEP_3)
	v_xor_b32_e32 v22, v19, v21
	v_add_co_u32 v3, vcc_lo, v3, v13
	s_delay_alu instid0(VALU_DEP_3) | instskip(SKIP_1) | instid1(VALU_DEP_3)
	v_add_co_ci_u32_e32 v13, vcc_lo, v12, v17, vcc_lo
	v_xor_b32_e32 v23, v11, v21
	v_mul_hi_u32 v24, v22, v3
	s_delay_alu instid0(VALU_DEP_3) | instskip(NEXT) | instid1(VALU_DEP_3)
	v_mad_u64_u32 v[11:12], null, v22, v13, 0
	v_mad_u64_u32 v[17:18], null, v23, v3, 0
	;; [unrolled: 1-line block ×3, first 2 shown]
	s_delay_alu instid0(VALU_DEP_3) | instskip(NEXT) | instid1(VALU_DEP_4)
	v_add_co_u32 v3, vcc_lo, v24, v11
	v_add_co_ci_u32_e32 v11, vcc_lo, 0, v12, vcc_lo
	s_delay_alu instid0(VALU_DEP_2) | instskip(NEXT) | instid1(VALU_DEP_2)
	v_add_co_u32 v3, vcc_lo, v3, v17
	v_add_co_ci_u32_e32 v3, vcc_lo, v11, v18, vcc_lo
	v_add_co_ci_u32_e32 v11, vcc_lo, 0, v20, vcc_lo
	s_delay_alu instid0(VALU_DEP_2) | instskip(NEXT) | instid1(VALU_DEP_2)
	v_add_co_u32 v3, vcc_lo, v3, v19
	v_add_co_ci_u32_e32 v13, vcc_lo, 0, v11, vcc_lo
	s_delay_alu instid0(VALU_DEP_2) | instskip(SKIP_1) | instid1(VALU_DEP_3)
	v_mul_lo_u32 v17, s11, v3
	v_mad_u64_u32 v[11:12], null, s10, v3, 0
	v_mul_lo_u32 v13, s10, v13
	s_delay_alu instid0(VALU_DEP_2) | instskip(NEXT) | instid1(VALU_DEP_2)
	v_sub_co_u32 v11, vcc_lo, v22, v11
	v_add3_u32 v12, v12, v13, v17
	v_add_co_u32 v17, s0, v3, 2
	s_delay_alu instid0(VALU_DEP_2) | instskip(NEXT) | instid1(VALU_DEP_1)
	v_sub_nc_u32_e32 v13, v23, v12
	v_subrev_co_ci_u32_e64 v13, s0, s11, v13, vcc_lo
	v_sub_co_u32 v18, s0, v11, s10
	v_sub_co_ci_u32_e32 v12, vcc_lo, v23, v12, vcc_lo
	s_delay_alu instid0(VALU_DEP_3) | instskip(NEXT) | instid1(VALU_DEP_3)
	v_subrev_co_ci_u32_e64 v13, s0, 0, v13, s0
	v_cmp_le_u32_e32 vcc_lo, s10, v18
	v_cndmask_b32_e64 v18, 0, -1, vcc_lo
	s_delay_alu instid0(VALU_DEP_3)
	v_cmp_le_u32_e32 vcc_lo, s11, v13
	v_cndmask_b32_e64 v19, 0, -1, vcc_lo
	v_cmp_le_u32_e32 vcc_lo, s10, v11
	v_cndmask_b32_e64 v11, 0, -1, vcc_lo
	;; [unrolled: 2-line block ×3, first 2 shown]
	v_cmp_eq_u32_e32 vcc_lo, s11, v13
	v_cndmask_b32_e32 v13, v19, v18, vcc_lo
	v_add_co_u32 v18, vcc_lo, v3, 1
	v_cmp_eq_u32_e32 vcc_lo, s11, v12
	v_cndmask_b32_e32 v11, v20, v11, vcc_lo
	s_delay_alu instid0(VALU_DEP_4) | instskip(NEXT) | instid1(VALU_DEP_4)
	v_cmp_ne_u32_e32 vcc_lo, 0, v13
	v_cndmask_b32_e32 v12, v18, v17, vcc_lo
	s_delay_alu instid0(VALU_DEP_3) | instskip(SKIP_1) | instid1(VALU_DEP_3)
	v_cmp_ne_u32_e32 vcc_lo, 0, v11
	v_xor_b32_e32 v11, s8, v21
	v_cndmask_b32_e32 v3, v3, v12, vcc_lo
	s_delay_alu instid0(VALU_DEP_1) | instskip(NEXT) | instid1(VALU_DEP_1)
	v_xor_b32_e32 v3, v3, v11
	v_sub_co_u32 v12, vcc_lo, v3, v11
.LBB1_15:                               ;   in Loop: Header=BB1_4 Depth=1
	s_and_not1_saveexec_b32 s0, s5
	s_cbranch_execz .LBB1_2
; %bb.16:                               ;   in Loop: Header=BB1_4 Depth=1
	v_cvt_f32_u32_e32 v3, s22
	s_sub_i32 s5, 0, s22
	s_delay_alu instid0(VALU_DEP_1) | instskip(SKIP_2) | instid1(VALU_DEP_1)
	v_rcp_iflag_f32_e32 v3, v3
	s_waitcnt_depctr 0xfff
	v_mul_f32_e32 v3, 0x4f7ffffe, v3
	v_cvt_u32_f32_e32 v3, v3
	s_delay_alu instid0(VALU_DEP_1) | instskip(NEXT) | instid1(VALU_DEP_1)
	v_mul_lo_u32 v11, s5, v3
	v_mul_hi_u32 v11, v3, v11
	s_delay_alu instid0(VALU_DEP_1) | instskip(NEXT) | instid1(VALU_DEP_1)
	v_add_nc_u32_e32 v3, v3, v11
	v_mul_hi_u32 v3, v10, v3
	s_delay_alu instid0(VALU_DEP_1) | instskip(NEXT) | instid1(VALU_DEP_1)
	v_mul_lo_u32 v11, v3, s22
	v_sub_nc_u32_e32 v11, v10, v11
	s_delay_alu instid0(VALU_DEP_1) | instskip(SKIP_1) | instid1(VALU_DEP_2)
	v_subrev_nc_u32_e32 v13, s22, v11
	v_cmp_le_u32_e32 vcc_lo, s22, v11
	v_dual_cndmask_b32 v11, v11, v13 :: v_dual_add_nc_u32 v12, 1, v3
	s_delay_alu instid0(VALU_DEP_1) | instskip(NEXT) | instid1(VALU_DEP_2)
	v_cndmask_b32_e32 v3, v3, v12, vcc_lo
	v_cmp_le_u32_e32 vcc_lo, s22, v11
	s_delay_alu instid0(VALU_DEP_2) | instskip(NEXT) | instid1(VALU_DEP_1)
	v_add_nc_u32_e32 v12, 1, v3
	v_cndmask_b32_e32 v12, v3, v12, vcc_lo
	s_branch .LBB1_2
.LBB1_17:
	s_or_b32 exec_lo, exec_lo, s1
	s_and_saveexec_b32 s0, s14
	s_delay_alu instid0(SALU_CYCLE_1)
	s_xor_b32 s0, exec_lo, s0
	s_cbranch_execnz .LBB1_19
.LBB1_18:
	s_nop 0
	s_sendmsg sendmsg(MSG_DEALLOC_VGPRS)
	s_endpgm
.LBB1_19:
	s_cbranch_execnz .LBB1_21
; %bb.20:
	; divergent unreachable
	s_nop 0
	s_sendmsg sendmsg(MSG_DEALLOC_VGPRS)
	s_endpgm
.LBB1_21:
	s_trap 2
	s_sendmsg_rtn_b32 s0, sendmsg(MSG_RTN_GET_DOORBELL)
	s_mov_b32 ttmp2, m0
	s_waitcnt lgkmcnt(0)
	s_and_b32 s0, s0, 0x3ff
	s_delay_alu instid0(SALU_CYCLE_1) | instskip(NEXT) | instid1(SALU_CYCLE_1)
	s_bitset1_b32 s0, 10
	s_mov_b32 m0, s0
	s_sendmsg sendmsg(MSG_INTERRUPT)
	s_mov_b32 m0, ttmp2
.LBB1_22:                               ; =>This Inner Loop Header: Depth=1
	s_sethalt 5
	s_branch .LBB1_22
	.section	.rodata,"a",@progbits
	.p2align	6, 0x0
	.amdhsa_kernel _ZN2at6native30max_unpooling2d_forward_kernelIaEEvlPKT_PKllllllPS2_
		.amdhsa_group_segment_fixed_size 0
		.amdhsa_private_segment_fixed_size 0
		.amdhsa_kernarg_size 328
		.amdhsa_user_sgpr_count 15
		.amdhsa_user_sgpr_dispatch_ptr 0
		.amdhsa_user_sgpr_queue_ptr 0
		.amdhsa_user_sgpr_kernarg_segment_ptr 1
		.amdhsa_user_sgpr_dispatch_id 0
		.amdhsa_user_sgpr_private_segment_size 0
		.amdhsa_wavefront_size32 1
		.amdhsa_uses_dynamic_stack 0
		.amdhsa_enable_private_segment 0
		.amdhsa_system_sgpr_workgroup_id_x 1
		.amdhsa_system_sgpr_workgroup_id_y 0
		.amdhsa_system_sgpr_workgroup_id_z 0
		.amdhsa_system_sgpr_workgroup_info 0
		.amdhsa_system_vgpr_workitem_id 0
		.amdhsa_next_free_vgpr 25
		.amdhsa_next_free_sgpr 32
		.amdhsa_reserve_vcc 1
		.amdhsa_float_round_mode_32 0
		.amdhsa_float_round_mode_16_64 0
		.amdhsa_float_denorm_mode_32 3
		.amdhsa_float_denorm_mode_16_64 3
		.amdhsa_dx10_clamp 1
		.amdhsa_ieee_mode 1
		.amdhsa_fp16_overflow 0
		.amdhsa_workgroup_processor_mode 1
		.amdhsa_memory_ordered 1
		.amdhsa_forward_progress 0
		.amdhsa_shared_vgpr_count 0
		.amdhsa_exception_fp_ieee_invalid_op 0
		.amdhsa_exception_fp_denorm_src 0
		.amdhsa_exception_fp_ieee_div_zero 0
		.amdhsa_exception_fp_ieee_overflow 0
		.amdhsa_exception_fp_ieee_underflow 0
		.amdhsa_exception_fp_ieee_inexact 0
		.amdhsa_exception_int_div_zero 0
	.end_amdhsa_kernel
	.section	.text._ZN2at6native30max_unpooling2d_forward_kernelIaEEvlPKT_PKllllllPS2_,"axG",@progbits,_ZN2at6native30max_unpooling2d_forward_kernelIaEEvlPKT_PKllllllPS2_,comdat
.Lfunc_end1:
	.size	_ZN2at6native30max_unpooling2d_forward_kernelIaEEvlPKT_PKllllllPS2_, .Lfunc_end1-_ZN2at6native30max_unpooling2d_forward_kernelIaEEvlPKT_PKllllllPS2_
                                        ; -- End function
	.section	.AMDGPU.csdata,"",@progbits
; Kernel info:
; codeLenInByte = 3528
; NumSgprs: 34
; NumVgprs: 25
; ScratchSize: 0
; MemoryBound: 0
; FloatMode: 240
; IeeeMode: 1
; LDSByteSize: 0 bytes/workgroup (compile time only)
; SGPRBlocks: 4
; VGPRBlocks: 3
; NumSGPRsForWavesPerEU: 34
; NumVGPRsForWavesPerEU: 25
; Occupancy: 16
; WaveLimiterHint : 1
; COMPUTE_PGM_RSRC2:SCRATCH_EN: 0
; COMPUTE_PGM_RSRC2:USER_SGPR: 15
; COMPUTE_PGM_RSRC2:TRAP_HANDLER: 0
; COMPUTE_PGM_RSRC2:TGID_X_EN: 1
; COMPUTE_PGM_RSRC2:TGID_Y_EN: 0
; COMPUTE_PGM_RSRC2:TGID_Z_EN: 0
; COMPUTE_PGM_RSRC2:TIDIG_COMP_CNT: 0
	.section	.text._ZN2at6native30max_unpooling2d_forward_kernelIiEEvlPKT_PKllllllPS2_,"axG",@progbits,_ZN2at6native30max_unpooling2d_forward_kernelIiEEvlPKT_PKllllllPS2_,comdat
	.protected	_ZN2at6native30max_unpooling2d_forward_kernelIiEEvlPKT_PKllllllPS2_ ; -- Begin function _ZN2at6native30max_unpooling2d_forward_kernelIiEEvlPKT_PKllllllPS2_
	.globl	_ZN2at6native30max_unpooling2d_forward_kernelIiEEvlPKT_PKllllllPS2_
	.p2align	8
	.type	_ZN2at6native30max_unpooling2d_forward_kernelIiEEvlPKT_PKllllllPS2_,@function
_ZN2at6native30max_unpooling2d_forward_kernelIiEEvlPKT_PKllllllPS2_: ; @_ZN2at6native30max_unpooling2d_forward_kernelIiEEvlPKT_PKllllllPS2_
; %bb.0:
	s_clause 0x1
	s_load_b32 s4, s[0:1], 0x54
	s_load_b512 s[16:31], s[0:1], 0x0
	v_mov_b32_e32 v2, 0
	s_add_u32 s2, s0, 0x48
	s_addc_u32 s3, s1, 0
	s_mov_b32 s5, exec_lo
	s_delay_alu instid0(VALU_DEP_1)
	v_mov_b32_e32 v1, v2
	s_waitcnt lgkmcnt(0)
	s_and_b32 s4, s4, 0xffff
	s_delay_alu instid0(VALU_DEP_1) | instid1(SALU_CYCLE_1)
	v_mad_u64_u32 v[4:5], null, s4, s15, v[0:1]
	s_delay_alu instid0(VALU_DEP_1)
	v_cmpx_gt_i64_e64 s[16:17], v[4:5]
	s_cbranch_execz .LBB2_18
; %bb.1:
	v_cvt_f32_u32_e32 v0, s26
	s_load_b64 s[6:7], s[0:1], 0x40
	s_load_b32 s5, s[2:3], 0x0
	s_sub_i32 s0, 0, s26
	s_mul_hi_u32 s3, s30, s28
	v_rcp_iflag_f32_e32 v0, v0
	s_mul_i32 s8, s31, s28
	s_mul_i32 s2, s30, s28
	s_mov_b32 s1, 0
                                        ; implicit-def: $sgpr14
                                        ; implicit-def: $sgpr28
                                        ; implicit-def: $sgpr15
	s_waitcnt_depctr 0xfff
	v_dual_mov_b32 v3, v4 :: v_dual_mul_f32 v0, 0x4f7ffffe, v0
	s_delay_alu instid0(VALU_DEP_1)
	v_cvt_u32_f32_e32 v6, v0
	s_waitcnt lgkmcnt(0)
	s_mul_i32 s12, s5, s4
	s_ashr_i32 s4, s27, 31
	s_mov_b32 s13, s12
	v_mul_lo_u32 v0, s0, v6
	s_mul_i32 s0, s30, s29
	s_delay_alu instid0(SALU_CYCLE_1) | instskip(NEXT) | instid1(SALU_CYCLE_1)
	s_add_i32 s0, s3, s0
	s_add_i32 s3, s0, s8
	s_delay_alu instid0(VALU_DEP_1) | instskip(SKIP_2) | instid1(VALU_DEP_2)
	v_mul_hi_u32 v7, v6, v0
	v_dual_mov_b32 v0, s6 :: v_dual_mov_b32 v1, s7
	s_ashr_i32 s6, s25, 31
	v_dual_mov_b32 v7, v3 :: v_dual_add_nc_u32 v16, v6, v7
	v_mov_b32_e32 v6, v2
	s_branch .LBB2_4
.LBB2_2:                                ;   in Loop: Header=BB2_4 Depth=1
	s_or_b32 exec_lo, exec_lo, s0
	v_lshlrev_b64 v[10:11], 2, v[10:11]
	s_delay_alu instid0(VALU_DEP_2) | instskip(SKIP_2) | instid1(VALU_DEP_1)
	v_ashrrev_i32_e32 v15, 31, v14
	v_lshlrev_b64 v[8:9], 2, v[8:9]
	v_add_co_u32 v6, s0, v6, 0
	v_add_co_ci_u32_e64 v7, s0, s13, v7, s0
	v_add_co_u32 v10, vcc_lo, s18, v10
	v_add_co_ci_u32_e32 v11, vcc_lo, s19, v11, vcc_lo
	s_and_not1_b32 s0, s28, exec_lo
	s_and_not1_b32 s15, s15, exec_lo
	global_load_b32 v3, v[10:11], off
	v_mul_lo_u32 v10, v14, s22
	s_delay_alu instid0(VALU_DEP_1) | instskip(NEXT) | instid1(VALU_DEP_1)
	v_sub_nc_u32_e32 v10, v12, v10
	v_ashrrev_i32_e32 v11, 31, v10
	s_delay_alu instid0(VALU_DEP_1) | instskip(SKIP_2) | instid1(VALU_DEP_1)
	v_mad_u64_u32 v[12:13], null, v14, s22, v[10:11]
	v_mul_lo_u32 v10, v14, s23
	v_mul_lo_u32 v11, v15, s22
	v_add3_u32 v10, v11, v13, v10
	s_delay_alu instid0(VALU_DEP_4) | instskip(NEXT) | instid1(VALU_DEP_2)
	v_mul_lo_u32 v13, s3, v12
	v_mul_lo_u32 v14, s2, v10
	v_mad_u64_u32 v[10:11], null, s2, v12, 0
	s_delay_alu instid0(VALU_DEP_1) | instskip(NEXT) | instid1(VALU_DEP_1)
	v_add3_u32 v11, v11, v14, v13
	v_lshlrev_b64 v[10:11], 2, v[10:11]
	s_delay_alu instid0(VALU_DEP_1) | instskip(NEXT) | instid1(VALU_DEP_2)
	v_add_co_u32 v0, vcc_lo, v0, v10
	v_add_co_ci_u32_e32 v1, vcc_lo, v1, v11, vcc_lo
	v_add_co_u32 v4, vcc_lo, v4, s12
	v_add_co_ci_u32_e32 v5, vcc_lo, 0, v5, vcc_lo
	s_delay_alu instid0(VALU_DEP_4) | instskip(NEXT) | instid1(VALU_DEP_4)
	v_add_co_u32 v8, vcc_lo, v0, v8
	v_add_co_ci_u32_e32 v9, vcc_lo, v1, v9, vcc_lo
	s_delay_alu instid0(VALU_DEP_3) | instskip(SKIP_1) | instid1(SALU_CYCLE_1)
	v_cmp_le_i64_e32 vcc_lo, s[16:17], v[4:5]
	s_and_b32 s5, vcc_lo, exec_lo
	s_or_b32 s28, s0, s5
	s_waitcnt vmcnt(0)
	global_store_b32 v[8:9], v3, off
.LBB2_3:                                ;   in Loop: Header=BB2_4 Depth=1
	s_or_b32 exec_lo, exec_lo, s29
	s_delay_alu instid0(SALU_CYCLE_1) | instskip(NEXT) | instid1(SALU_CYCLE_1)
	s_and_b32 s0, exec_lo, s28
	s_or_b32 s1, s0, s1
	s_and_not1_b32 s0, s14, exec_lo
	s_and_b32 s5, s15, exec_lo
	s_delay_alu instid0(SALU_CYCLE_1)
	s_or_b32 s14, s0, s5
	s_and_not1_b32 exec_lo, exec_lo, s1
	s_cbranch_execz .LBB2_17
.LBB2_4:                                ; =>This Inner Loop Header: Depth=1
	s_delay_alu instid0(VALU_DEP_1) | instskip(SKIP_2) | instid1(VALU_DEP_1)
	v_ashrrev_i64 v[8:9], 29, v[6:7]
	s_or_b32 s15, s15, exec_lo
	s_or_b32 s28, s28, exec_lo
	v_add_co_u32 v8, vcc_lo, s20, v8
	s_delay_alu instid0(VALU_DEP_2) | instskip(SKIP_4) | instid1(VALU_DEP_2)
	v_add_co_ci_u32_e32 v9, vcc_lo, s21, v9, vcc_lo
	global_load_b64 v[8:9], v[8:9], off
	s_waitcnt vmcnt(0)
	v_ashrrev_i32_e32 v9, 31, v8
	v_cmp_lt_i32_e64 s0, -1, v8
	v_cmp_gt_i64_e32 vcc_lo, s[2:3], v[8:9]
	s_delay_alu instid0(VALU_DEP_2) | instskip(NEXT) | instid1(SALU_CYCLE_1)
	s_and_b32 s0, s0, vcc_lo
	s_and_saveexec_b32 s29, s0
	s_cbranch_execz .LBB2_3
; %bb.5:                                ;   in Loop: Header=BB2_4 Depth=1
	v_ashrrev_i32_e32 v11, 31, v7
	v_mov_b32_e32 v10, v7
                                        ; implicit-def: $vgpr14_vgpr15
	s_mov_b32 s0, exec_lo
	s_delay_alu instid0(VALU_DEP_2) | instskip(NEXT) | instid1(VALU_DEP_1)
	v_or_b32_e32 v3, s27, v11
	v_cmpx_ne_u64_e32 0, v[2:3]
	s_xor_b32 s7, exec_lo, s0
	s_cbranch_execz .LBB2_7
; %bb.6:                                ;   in Loop: Header=BB2_4 Depth=1
	s_add_u32 s8, s26, s4
	s_mov_b32 s5, s4
	s_addc_u32 s9, s27, s4
	s_delay_alu instid0(SALU_CYCLE_1) | instskip(NEXT) | instid1(SALU_CYCLE_1)
	s_xor_b64 s[8:9], s[8:9], s[4:5]
	v_cvt_f32_u32_e32 v3, s8
	v_cvt_f32_u32_e32 v12, s9
	s_sub_u32 s0, 0, s8
	s_subb_u32 s5, 0, s9
	s_delay_alu instid0(VALU_DEP_1) | instskip(NEXT) | instid1(VALU_DEP_1)
	v_fmac_f32_e32 v3, 0x4f800000, v12
	v_rcp_f32_e32 v3, v3
	s_waitcnt_depctr 0xfff
	v_mul_f32_e32 v3, 0x5f7ffffc, v3
	s_delay_alu instid0(VALU_DEP_1) | instskip(NEXT) | instid1(VALU_DEP_1)
	v_mul_f32_e32 v12, 0x2f800000, v3
	v_trunc_f32_e32 v12, v12
	s_delay_alu instid0(VALU_DEP_1) | instskip(SKIP_1) | instid1(VALU_DEP_2)
	v_fmac_f32_e32 v3, 0xcf800000, v12
	v_cvt_u32_f32_e32 v12, v12
	v_cvt_u32_f32_e32 v3, v3
	s_delay_alu instid0(VALU_DEP_2) | instskip(NEXT) | instid1(VALU_DEP_2)
	v_mul_lo_u32 v13, s0, v12
	v_mul_hi_u32 v14, s0, v3
	v_mul_lo_u32 v15, s5, v3
	s_delay_alu instid0(VALU_DEP_2) | instskip(SKIP_1) | instid1(VALU_DEP_2)
	v_add_nc_u32_e32 v13, v14, v13
	v_mul_lo_u32 v14, s0, v3
	v_add_nc_u32_e32 v13, v13, v15
	s_delay_alu instid0(VALU_DEP_2) | instskip(NEXT) | instid1(VALU_DEP_2)
	v_mul_hi_u32 v15, v3, v14
	v_mul_lo_u32 v17, v3, v13
	v_mul_hi_u32 v18, v3, v13
	v_mul_hi_u32 v19, v12, v14
	v_mul_lo_u32 v14, v12, v14
	v_mul_hi_u32 v20, v12, v13
	v_mul_lo_u32 v13, v12, v13
	v_add_co_u32 v15, vcc_lo, v15, v17
	v_add_co_ci_u32_e32 v17, vcc_lo, 0, v18, vcc_lo
	s_delay_alu instid0(VALU_DEP_2) | instskip(NEXT) | instid1(VALU_DEP_2)
	v_add_co_u32 v14, vcc_lo, v15, v14
	v_add_co_ci_u32_e32 v14, vcc_lo, v17, v19, vcc_lo
	v_add_co_ci_u32_e32 v15, vcc_lo, 0, v20, vcc_lo
	v_ashrrev_i32_e32 v19, 31, v11
	s_delay_alu instid0(VALU_DEP_3) | instskip(NEXT) | instid1(VALU_DEP_3)
	v_add_co_u32 v13, vcc_lo, v14, v13
	v_add_co_ci_u32_e32 v14, vcc_lo, 0, v15, vcc_lo
	s_delay_alu instid0(VALU_DEP_2) | instskip(NEXT) | instid1(VALU_DEP_2)
	v_add_co_u32 v3, vcc_lo, v3, v13
	v_add_co_ci_u32_e32 v12, vcc_lo, v12, v14, vcc_lo
	s_delay_alu instid0(VALU_DEP_2) | instskip(SKIP_1) | instid1(VALU_DEP_3)
	v_mul_hi_u32 v13, s0, v3
	v_mul_lo_u32 v15, s5, v3
	v_mul_lo_u32 v14, s0, v12
	s_delay_alu instid0(VALU_DEP_1) | instskip(SKIP_1) | instid1(VALU_DEP_2)
	v_add_nc_u32_e32 v13, v13, v14
	v_mul_lo_u32 v14, s0, v3
	v_add_nc_u32_e32 v13, v13, v15
	s_delay_alu instid0(VALU_DEP_2) | instskip(NEXT) | instid1(VALU_DEP_2)
	v_mul_hi_u32 v15, v3, v14
	v_mul_lo_u32 v17, v3, v13
	v_mul_hi_u32 v18, v3, v13
	v_mul_hi_u32 v20, v12, v14
	v_mul_lo_u32 v14, v12, v14
	v_mul_hi_u32 v21, v12, v13
	v_mul_lo_u32 v13, v12, v13
	v_add_co_u32 v15, vcc_lo, v15, v17
	v_add_co_ci_u32_e32 v17, vcc_lo, 0, v18, vcc_lo
	s_delay_alu instid0(VALU_DEP_2) | instskip(NEXT) | instid1(VALU_DEP_2)
	v_add_co_u32 v14, vcc_lo, v15, v14
	v_add_co_ci_u32_e32 v14, vcc_lo, v17, v20, vcc_lo
	v_add_co_ci_u32_e32 v15, vcc_lo, 0, v21, vcc_lo
	v_add_co_u32 v17, vcc_lo, v10, v19
	v_add_co_ci_u32_e32 v18, vcc_lo, v11, v19, vcc_lo
	s_delay_alu instid0(VALU_DEP_4) | instskip(NEXT) | instid1(VALU_DEP_4)
	v_add_co_u32 v13, vcc_lo, v14, v13
	v_add_co_ci_u32_e32 v14, vcc_lo, 0, v15, vcc_lo
	s_delay_alu instid0(VALU_DEP_4) | instskip(NEXT) | instid1(VALU_DEP_3)
	v_xor_b32_e32 v20, v17, v19
	v_add_co_u32 v3, vcc_lo, v3, v13
	s_delay_alu instid0(VALU_DEP_3) | instskip(SKIP_1) | instid1(VALU_DEP_3)
	v_add_co_ci_u32_e32 v21, vcc_lo, v12, v14, vcc_lo
	v_xor_b32_e32 v22, v18, v19
	v_mul_hi_u32 v23, v20, v3
	s_delay_alu instid0(VALU_DEP_3) | instskip(NEXT) | instid1(VALU_DEP_3)
	v_mad_u64_u32 v[12:13], null, v20, v21, 0
	v_mad_u64_u32 v[14:15], null, v22, v3, 0
	;; [unrolled: 1-line block ×3, first 2 shown]
	s_delay_alu instid0(VALU_DEP_3) | instskip(NEXT) | instid1(VALU_DEP_4)
	v_add_co_u32 v3, vcc_lo, v23, v12
	v_add_co_ci_u32_e32 v12, vcc_lo, 0, v13, vcc_lo
	s_delay_alu instid0(VALU_DEP_2) | instskip(NEXT) | instid1(VALU_DEP_2)
	v_add_co_u32 v3, vcc_lo, v3, v14
	v_add_co_ci_u32_e32 v3, vcc_lo, v12, v15, vcc_lo
	v_add_co_ci_u32_e32 v12, vcc_lo, 0, v18, vcc_lo
	s_delay_alu instid0(VALU_DEP_2) | instskip(NEXT) | instid1(VALU_DEP_2)
	v_add_co_u32 v3, vcc_lo, v3, v17
	v_add_co_ci_u32_e32 v14, vcc_lo, 0, v12, vcc_lo
	s_delay_alu instid0(VALU_DEP_2) | instskip(SKIP_1) | instid1(VALU_DEP_3)
	v_mul_lo_u32 v15, s9, v3
	v_mad_u64_u32 v[12:13], null, s8, v3, 0
	v_mul_lo_u32 v17, s8, v14
	s_delay_alu instid0(VALU_DEP_2) | instskip(NEXT) | instid1(VALU_DEP_2)
	v_sub_co_u32 v12, vcc_lo, v20, v12
	v_add3_u32 v13, v13, v17, v15
	s_delay_alu instid0(VALU_DEP_1) | instskip(NEXT) | instid1(VALU_DEP_1)
	v_sub_nc_u32_e32 v15, v22, v13
	v_subrev_co_ci_u32_e64 v15, s0, s9, v15, vcc_lo
	v_add_co_u32 v17, s0, v3, 2
	s_delay_alu instid0(VALU_DEP_1) | instskip(SKIP_3) | instid1(VALU_DEP_3)
	v_add_co_ci_u32_e64 v18, s0, 0, v14, s0
	v_sub_co_u32 v20, s0, v12, s8
	v_sub_co_ci_u32_e32 v13, vcc_lo, v22, v13, vcc_lo
	v_subrev_co_ci_u32_e64 v15, s0, 0, v15, s0
	v_cmp_le_u32_e32 vcc_lo, s8, v20
	s_delay_alu instid0(VALU_DEP_3) | instskip(SKIP_1) | instid1(VALU_DEP_4)
	v_cmp_eq_u32_e64 s0, s9, v13
	v_cndmask_b32_e64 v20, 0, -1, vcc_lo
	v_cmp_le_u32_e32 vcc_lo, s9, v15
	v_cndmask_b32_e64 v21, 0, -1, vcc_lo
	v_cmp_le_u32_e32 vcc_lo, s8, v12
	;; [unrolled: 2-line block ×3, first 2 shown]
	v_cndmask_b32_e64 v22, 0, -1, vcc_lo
	v_cmp_eq_u32_e32 vcc_lo, s9, v15
	s_delay_alu instid0(VALU_DEP_2) | instskip(SKIP_3) | instid1(VALU_DEP_3)
	v_cndmask_b32_e64 v12, v22, v12, s0
	v_cndmask_b32_e32 v15, v21, v20, vcc_lo
	v_add_co_u32 v20, vcc_lo, v3, 1
	v_add_co_ci_u32_e32 v21, vcc_lo, 0, v14, vcc_lo
	v_cmp_ne_u32_e32 vcc_lo, 0, v15
	s_delay_alu instid0(VALU_DEP_2) | instskip(NEXT) | instid1(VALU_DEP_4)
	v_cndmask_b32_e32 v13, v21, v18, vcc_lo
	v_cndmask_b32_e32 v15, v20, v17, vcc_lo
	v_cmp_ne_u32_e32 vcc_lo, 0, v12
	v_xor_b32_e32 v12, s4, v19
	s_delay_alu instid0(VALU_DEP_3) | instskip(SKIP_1) | instid1(VALU_DEP_2)
	v_cndmask_b32_e32 v3, v3, v15, vcc_lo
	v_cndmask_b32_e32 v13, v14, v13, vcc_lo
	v_xor_b32_e32 v3, v3, v12
	s_delay_alu instid0(VALU_DEP_2) | instskip(NEXT) | instid1(VALU_DEP_2)
	v_xor_b32_e32 v13, v13, v12
	v_sub_co_u32 v14, vcc_lo, v3, v12
	s_delay_alu instid0(VALU_DEP_2)
	v_sub_co_ci_u32_e32 v15, vcc_lo, v13, v12, vcc_lo
.LBB2_7:                                ;   in Loop: Header=BB2_4 Depth=1
	s_and_not1_saveexec_b32 s0, s7
; %bb.8:                                ;   in Loop: Header=BB2_4 Depth=1
	v_mul_hi_u32 v3, v7, v16
	v_mov_b32_e32 v15, v2
	s_delay_alu instid0(VALU_DEP_2) | instskip(NEXT) | instid1(VALU_DEP_1)
	v_mul_lo_u32 v12, v3, s26
	v_sub_nc_u32_e32 v12, v7, v12
	s_delay_alu instid0(VALU_DEP_1) | instskip(SKIP_1) | instid1(VALU_DEP_2)
	v_subrev_nc_u32_e32 v14, s26, v12
	v_cmp_le_u32_e32 vcc_lo, s26, v12
	v_dual_cndmask_b32 v12, v12, v14 :: v_dual_add_nc_u32 v13, 1, v3
	s_delay_alu instid0(VALU_DEP_1) | instskip(NEXT) | instid1(VALU_DEP_2)
	v_cndmask_b32_e32 v3, v3, v13, vcc_lo
	v_cmp_le_u32_e32 vcc_lo, s26, v12
	s_delay_alu instid0(VALU_DEP_2) | instskip(NEXT) | instid1(VALU_DEP_1)
	v_add_nc_u32_e32 v13, 1, v3
	v_cndmask_b32_e32 v14, v3, v13, vcc_lo
; %bb.9:                                ;   in Loop: Header=BB2_4 Depth=1
	s_or_b32 exec_lo, exec_lo, s0
	v_or_b32_e32 v3, s25, v15
                                        ; implicit-def: $vgpr12_vgpr13
	s_mov_b32 s0, exec_lo
	s_delay_alu instid0(VALU_DEP_1)
	v_cmpx_ne_u64_e32 0, v[2:3]
	s_xor_b32 s5, exec_lo, s0
	s_cbranch_execz .LBB2_11
; %bb.10:                               ;   in Loop: Header=BB2_4 Depth=1
	s_add_u32 s8, s24, s6
	s_mov_b32 s7, s6
	s_addc_u32 s9, s25, s6
	s_delay_alu instid0(SALU_CYCLE_1) | instskip(NEXT) | instid1(SALU_CYCLE_1)
	s_xor_b64 s[8:9], s[8:9], s[6:7]
	v_cvt_f32_u32_e32 v3, s8
	v_cvt_f32_u32_e32 v12, s9
	s_sub_u32 s0, 0, s8
	s_subb_u32 s7, 0, s9
	s_delay_alu instid0(VALU_DEP_1) | instskip(NEXT) | instid1(VALU_DEP_1)
	v_fmac_f32_e32 v3, 0x4f800000, v12
	v_rcp_f32_e32 v3, v3
	s_waitcnt_depctr 0xfff
	v_mul_f32_e32 v3, 0x5f7ffffc, v3
	s_delay_alu instid0(VALU_DEP_1) | instskip(NEXT) | instid1(VALU_DEP_1)
	v_mul_f32_e32 v12, 0x2f800000, v3
	v_trunc_f32_e32 v12, v12
	s_delay_alu instid0(VALU_DEP_1) | instskip(SKIP_1) | instid1(VALU_DEP_2)
	v_fmac_f32_e32 v3, 0xcf800000, v12
	v_cvt_u32_f32_e32 v12, v12
	v_cvt_u32_f32_e32 v3, v3
	s_delay_alu instid0(VALU_DEP_2) | instskip(NEXT) | instid1(VALU_DEP_2)
	v_mul_lo_u32 v13, s0, v12
	v_mul_hi_u32 v17, s0, v3
	v_mul_lo_u32 v18, s7, v3
	s_delay_alu instid0(VALU_DEP_2) | instskip(SKIP_1) | instid1(VALU_DEP_2)
	v_add_nc_u32_e32 v13, v17, v13
	v_mul_lo_u32 v17, s0, v3
	v_add_nc_u32_e32 v13, v13, v18
	s_delay_alu instid0(VALU_DEP_2) | instskip(NEXT) | instid1(VALU_DEP_2)
	v_mul_hi_u32 v18, v3, v17
	v_mul_lo_u32 v19, v3, v13
	v_mul_hi_u32 v20, v3, v13
	v_mul_hi_u32 v21, v12, v17
	v_mul_lo_u32 v17, v12, v17
	v_mul_hi_u32 v22, v12, v13
	v_mul_lo_u32 v13, v12, v13
	v_add_co_u32 v18, vcc_lo, v18, v19
	v_add_co_ci_u32_e32 v19, vcc_lo, 0, v20, vcc_lo
	s_delay_alu instid0(VALU_DEP_2) | instskip(NEXT) | instid1(VALU_DEP_2)
	v_add_co_u32 v17, vcc_lo, v18, v17
	v_add_co_ci_u32_e32 v17, vcc_lo, v19, v21, vcc_lo
	v_add_co_ci_u32_e32 v18, vcc_lo, 0, v22, vcc_lo
	v_ashrrev_i32_e32 v21, 31, v15
	s_delay_alu instid0(VALU_DEP_3) | instskip(NEXT) | instid1(VALU_DEP_3)
	v_add_co_u32 v13, vcc_lo, v17, v13
	v_add_co_ci_u32_e32 v17, vcc_lo, 0, v18, vcc_lo
	s_delay_alu instid0(VALU_DEP_2) | instskip(NEXT) | instid1(VALU_DEP_2)
	v_add_co_u32 v3, vcc_lo, v3, v13
	v_add_co_ci_u32_e32 v12, vcc_lo, v12, v17, vcc_lo
	s_delay_alu instid0(VALU_DEP_2) | instskip(SKIP_1) | instid1(VALU_DEP_3)
	v_mul_hi_u32 v13, s0, v3
	v_mul_lo_u32 v18, s7, v3
	v_mul_lo_u32 v17, s0, v12
	s_delay_alu instid0(VALU_DEP_1) | instskip(SKIP_1) | instid1(VALU_DEP_2)
	v_add_nc_u32_e32 v13, v13, v17
	v_mul_lo_u32 v17, s0, v3
	v_add_nc_u32_e32 v13, v13, v18
	s_delay_alu instid0(VALU_DEP_2) | instskip(NEXT) | instid1(VALU_DEP_2)
	v_mul_hi_u32 v18, v3, v17
	v_mul_lo_u32 v19, v3, v13
	v_mul_hi_u32 v20, v3, v13
	v_mul_hi_u32 v22, v12, v17
	v_mul_lo_u32 v17, v12, v17
	v_mul_hi_u32 v23, v12, v13
	v_mul_lo_u32 v13, v12, v13
	v_add_co_u32 v18, vcc_lo, v18, v19
	v_add_co_ci_u32_e32 v19, vcc_lo, 0, v20, vcc_lo
	s_delay_alu instid0(VALU_DEP_2) | instskip(NEXT) | instid1(VALU_DEP_2)
	v_add_co_u32 v17, vcc_lo, v18, v17
	v_add_co_ci_u32_e32 v17, vcc_lo, v19, v22, vcc_lo
	v_add_co_ci_u32_e32 v18, vcc_lo, 0, v23, vcc_lo
	v_add_co_u32 v14, vcc_lo, v14, v21
	v_add_co_ci_u32_e32 v15, vcc_lo, v15, v21, vcc_lo
	s_delay_alu instid0(VALU_DEP_4) | instskip(NEXT) | instid1(VALU_DEP_4)
	v_add_co_u32 v13, vcc_lo, v17, v13
	v_add_co_ci_u32_e32 v17, vcc_lo, 0, v18, vcc_lo
	s_delay_alu instid0(VALU_DEP_4) | instskip(NEXT) | instid1(VALU_DEP_3)
	v_xor_b32_e32 v19, v14, v21
	v_add_co_u32 v3, vcc_lo, v3, v13
	s_delay_alu instid0(VALU_DEP_3) | instskip(SKIP_1) | instid1(VALU_DEP_3)
	v_add_co_ci_u32_e32 v20, vcc_lo, v12, v17, vcc_lo
	v_xor_b32_e32 v22, v15, v21
	v_mul_hi_u32 v23, v19, v3
	s_delay_alu instid0(VALU_DEP_3) | instskip(NEXT) | instid1(VALU_DEP_3)
	v_mad_u64_u32 v[12:13], null, v19, v20, 0
	v_mad_u64_u32 v[14:15], null, v22, v3, 0
	;; [unrolled: 1-line block ×3, first 2 shown]
	s_delay_alu instid0(VALU_DEP_3) | instskip(NEXT) | instid1(VALU_DEP_4)
	v_add_co_u32 v3, vcc_lo, v23, v12
	v_add_co_ci_u32_e32 v12, vcc_lo, 0, v13, vcc_lo
	s_delay_alu instid0(VALU_DEP_2) | instskip(NEXT) | instid1(VALU_DEP_2)
	v_add_co_u32 v3, vcc_lo, v3, v14
	v_add_co_ci_u32_e32 v3, vcc_lo, v12, v15, vcc_lo
	v_add_co_ci_u32_e32 v12, vcc_lo, 0, v18, vcc_lo
	s_delay_alu instid0(VALU_DEP_2) | instskip(NEXT) | instid1(VALU_DEP_2)
	v_add_co_u32 v3, vcc_lo, v3, v17
	v_add_co_ci_u32_e32 v14, vcc_lo, 0, v12, vcc_lo
	s_delay_alu instid0(VALU_DEP_2) | instskip(SKIP_1) | instid1(VALU_DEP_3)
	v_mul_lo_u32 v15, s9, v3
	v_mad_u64_u32 v[12:13], null, s8, v3, 0
	v_mul_lo_u32 v17, s8, v14
	s_delay_alu instid0(VALU_DEP_2) | instskip(NEXT) | instid1(VALU_DEP_2)
	v_sub_co_u32 v12, vcc_lo, v19, v12
	v_add3_u32 v13, v13, v17, v15
	s_delay_alu instid0(VALU_DEP_1) | instskip(NEXT) | instid1(VALU_DEP_1)
	v_sub_nc_u32_e32 v15, v22, v13
	v_subrev_co_ci_u32_e64 v15, s0, s9, v15, vcc_lo
	v_add_co_u32 v17, s0, v3, 2
	s_delay_alu instid0(VALU_DEP_1) | instskip(SKIP_3) | instid1(VALU_DEP_3)
	v_add_co_ci_u32_e64 v18, s0, 0, v14, s0
	v_sub_co_u32 v19, s0, v12, s8
	v_sub_co_ci_u32_e32 v13, vcc_lo, v22, v13, vcc_lo
	v_subrev_co_ci_u32_e64 v15, s0, 0, v15, s0
	v_cmp_le_u32_e32 vcc_lo, s8, v19
	s_delay_alu instid0(VALU_DEP_3) | instskip(SKIP_1) | instid1(VALU_DEP_4)
	v_cmp_eq_u32_e64 s0, s9, v13
	v_cndmask_b32_e64 v19, 0, -1, vcc_lo
	v_cmp_le_u32_e32 vcc_lo, s9, v15
	v_cndmask_b32_e64 v20, 0, -1, vcc_lo
	v_cmp_le_u32_e32 vcc_lo, s8, v12
	;; [unrolled: 2-line block ×3, first 2 shown]
	v_cndmask_b32_e64 v22, 0, -1, vcc_lo
	v_cmp_eq_u32_e32 vcc_lo, s9, v15
	s_delay_alu instid0(VALU_DEP_2) | instskip(SKIP_3) | instid1(VALU_DEP_3)
	v_cndmask_b32_e64 v12, v22, v12, s0
	v_cndmask_b32_e32 v15, v20, v19, vcc_lo
	v_add_co_u32 v19, vcc_lo, v3, 1
	v_add_co_ci_u32_e32 v20, vcc_lo, 0, v14, vcc_lo
	v_cmp_ne_u32_e32 vcc_lo, 0, v15
	s_delay_alu instid0(VALU_DEP_2) | instskip(NEXT) | instid1(VALU_DEP_4)
	v_cndmask_b32_e32 v13, v20, v18, vcc_lo
	v_cndmask_b32_e32 v15, v19, v17, vcc_lo
	v_cmp_ne_u32_e32 vcc_lo, 0, v12
	v_xor_b32_e32 v17, s6, v21
	s_delay_alu instid0(VALU_DEP_3) | instskip(NEXT) | instid1(VALU_DEP_1)
	v_dual_cndmask_b32 v3, v3, v15 :: v_dual_cndmask_b32 v12, v14, v13
                                        ; implicit-def: $vgpr14_vgpr15
	v_xor_b32_e32 v3, v3, v17
	s_delay_alu instid0(VALU_DEP_2) | instskip(NEXT) | instid1(VALU_DEP_2)
	v_xor_b32_e32 v13, v12, v17
	v_sub_co_u32 v12, vcc_lo, v3, v17
	s_delay_alu instid0(VALU_DEP_2)
	v_sub_co_ci_u32_e32 v13, vcc_lo, v13, v17, vcc_lo
.LBB2_11:                               ;   in Loop: Header=BB2_4 Depth=1
	s_and_not1_saveexec_b32 s0, s5
	s_cbranch_execz .LBB2_13
; %bb.12:                               ;   in Loop: Header=BB2_4 Depth=1
	v_cvt_f32_u32_e32 v3, s24
	s_sub_i32 s5, 0, s24
	s_delay_alu instid0(VALU_DEP_1) | instskip(SKIP_2) | instid1(VALU_DEP_1)
	v_rcp_iflag_f32_e32 v3, v3
	s_waitcnt_depctr 0xfff
	v_mul_f32_e32 v3, 0x4f7ffffe, v3
	v_cvt_u32_f32_e32 v3, v3
	s_delay_alu instid0(VALU_DEP_1) | instskip(NEXT) | instid1(VALU_DEP_1)
	v_mul_lo_u32 v12, s5, v3
	v_mul_hi_u32 v12, v3, v12
	s_delay_alu instid0(VALU_DEP_1) | instskip(NEXT) | instid1(VALU_DEP_1)
	v_add_nc_u32_e32 v3, v3, v12
	v_mul_hi_u32 v3, v14, v3
	s_delay_alu instid0(VALU_DEP_1) | instskip(SKIP_1) | instid1(VALU_DEP_2)
	v_mul_lo_u32 v12, v3, s24
	v_add_nc_u32_e32 v13, 1, v3
	v_sub_nc_u32_e32 v12, v14, v12
	s_delay_alu instid0(VALU_DEP_1) | instskip(SKIP_1) | instid1(VALU_DEP_2)
	v_subrev_nc_u32_e32 v14, s24, v12
	v_cmp_le_u32_e32 vcc_lo, s24, v12
	v_dual_cndmask_b32 v12, v12, v14 :: v_dual_cndmask_b32 v3, v3, v13
	s_delay_alu instid0(VALU_DEP_1) | instskip(NEXT) | instid1(VALU_DEP_2)
	v_cmp_le_u32_e32 vcc_lo, s24, v12
	v_add_nc_u32_e32 v13, 1, v3
	s_delay_alu instid0(VALU_DEP_1)
	v_dual_cndmask_b32 v12, v3, v13 :: v_dual_mov_b32 v13, v2
.LBB2_13:                               ;   in Loop: Header=BB2_4 Depth=1
	s_or_b32 exec_lo, exec_lo, s0
	s_delay_alu instid0(VALU_DEP_1) | instskip(SKIP_1) | instid1(VALU_DEP_1)
	v_or_b32_e32 v3, s23, v13
                                        ; implicit-def: $vgpr14_vgpr15
	s_mov_b32 s0, exec_lo
	v_cmpx_ne_u64_e32 0, v[2:3]
	s_xor_b32 s5, exec_lo, s0
	s_cbranch_execz .LBB2_15
; %bb.14:                               ;   in Loop: Header=BB2_4 Depth=1
	s_ashr_i32 s8, s23, 31
	s_delay_alu instid0(SALU_CYCLE_1) | instskip(SKIP_2) | instid1(SALU_CYCLE_1)
	s_add_u32 s10, s22, s8
	s_mov_b32 s9, s8
	s_addc_u32 s11, s23, s8
	s_xor_b64 s[10:11], s[10:11], s[8:9]
	s_delay_alu instid0(SALU_CYCLE_1) | instskip(SKIP_3) | instid1(VALU_DEP_1)
	v_cvt_f32_u32_e32 v3, s10
	v_cvt_f32_u32_e32 v14, s11
	s_sub_u32 s0, 0, s10
	s_subb_u32 s7, 0, s11
	v_fmac_f32_e32 v3, 0x4f800000, v14
	s_delay_alu instid0(VALU_DEP_1) | instskip(SKIP_2) | instid1(VALU_DEP_1)
	v_rcp_f32_e32 v3, v3
	s_waitcnt_depctr 0xfff
	v_mul_f32_e32 v3, 0x5f7ffffc, v3
	v_mul_f32_e32 v14, 0x2f800000, v3
	s_delay_alu instid0(VALU_DEP_1) | instskip(NEXT) | instid1(VALU_DEP_1)
	v_trunc_f32_e32 v14, v14
	v_fmac_f32_e32 v3, 0xcf800000, v14
	v_cvt_u32_f32_e32 v14, v14
	s_delay_alu instid0(VALU_DEP_2) | instskip(NEXT) | instid1(VALU_DEP_2)
	v_cvt_u32_f32_e32 v3, v3
	v_mul_lo_u32 v15, s0, v14
	s_delay_alu instid0(VALU_DEP_2) | instskip(SKIP_1) | instid1(VALU_DEP_2)
	v_mul_hi_u32 v17, s0, v3
	v_mul_lo_u32 v18, s7, v3
	v_add_nc_u32_e32 v15, v17, v15
	v_mul_lo_u32 v17, s0, v3
	s_delay_alu instid0(VALU_DEP_2) | instskip(NEXT) | instid1(VALU_DEP_2)
	v_add_nc_u32_e32 v15, v15, v18
	v_mul_hi_u32 v18, v3, v17
	s_delay_alu instid0(VALU_DEP_2)
	v_mul_lo_u32 v19, v3, v15
	v_mul_hi_u32 v20, v3, v15
	v_mul_hi_u32 v21, v14, v17
	v_mul_lo_u32 v17, v14, v17
	v_mul_hi_u32 v22, v14, v15
	v_mul_lo_u32 v15, v14, v15
	v_add_co_u32 v18, vcc_lo, v18, v19
	v_add_co_ci_u32_e32 v19, vcc_lo, 0, v20, vcc_lo
	s_delay_alu instid0(VALU_DEP_2) | instskip(NEXT) | instid1(VALU_DEP_2)
	v_add_co_u32 v17, vcc_lo, v18, v17
	v_add_co_ci_u32_e32 v17, vcc_lo, v19, v21, vcc_lo
	v_add_co_ci_u32_e32 v18, vcc_lo, 0, v22, vcc_lo
	v_ashrrev_i32_e32 v21, 31, v13
	s_delay_alu instid0(VALU_DEP_3) | instskip(NEXT) | instid1(VALU_DEP_3)
	v_add_co_u32 v15, vcc_lo, v17, v15
	v_add_co_ci_u32_e32 v17, vcc_lo, 0, v18, vcc_lo
	s_delay_alu instid0(VALU_DEP_2) | instskip(NEXT) | instid1(VALU_DEP_2)
	v_add_co_u32 v3, vcc_lo, v3, v15
	v_add_co_ci_u32_e32 v14, vcc_lo, v14, v17, vcc_lo
	s_delay_alu instid0(VALU_DEP_2) | instskip(SKIP_1) | instid1(VALU_DEP_3)
	v_mul_hi_u32 v15, s0, v3
	v_mul_lo_u32 v18, s7, v3
	v_mul_lo_u32 v17, s0, v14
	s_delay_alu instid0(VALU_DEP_1) | instskip(SKIP_1) | instid1(VALU_DEP_2)
	v_add_nc_u32_e32 v15, v15, v17
	v_mul_lo_u32 v17, s0, v3
	v_add_nc_u32_e32 v15, v15, v18
	s_delay_alu instid0(VALU_DEP_2) | instskip(NEXT) | instid1(VALU_DEP_2)
	v_mul_hi_u32 v18, v3, v17
	v_mul_lo_u32 v19, v3, v15
	v_mul_hi_u32 v20, v3, v15
	v_mul_hi_u32 v22, v14, v17
	v_mul_lo_u32 v17, v14, v17
	v_mul_hi_u32 v23, v14, v15
	v_mul_lo_u32 v15, v14, v15
	v_add_co_u32 v18, vcc_lo, v18, v19
	v_add_co_ci_u32_e32 v19, vcc_lo, 0, v20, vcc_lo
	s_delay_alu instid0(VALU_DEP_2) | instskip(NEXT) | instid1(VALU_DEP_2)
	v_add_co_u32 v17, vcc_lo, v18, v17
	v_add_co_ci_u32_e32 v17, vcc_lo, v19, v22, vcc_lo
	v_add_co_ci_u32_e32 v18, vcc_lo, 0, v23, vcc_lo
	v_add_co_u32 v19, vcc_lo, v12, v21
	v_add_co_ci_u32_e32 v13, vcc_lo, v13, v21, vcc_lo
	s_delay_alu instid0(VALU_DEP_4) | instskip(NEXT) | instid1(VALU_DEP_4)
	v_add_co_u32 v15, vcc_lo, v17, v15
	v_add_co_ci_u32_e32 v17, vcc_lo, 0, v18, vcc_lo
	s_delay_alu instid0(VALU_DEP_4) | instskip(NEXT) | instid1(VALU_DEP_3)
	v_xor_b32_e32 v22, v19, v21
	v_add_co_u32 v3, vcc_lo, v3, v15
	s_delay_alu instid0(VALU_DEP_3) | instskip(SKIP_1) | instid1(VALU_DEP_3)
	v_add_co_ci_u32_e32 v15, vcc_lo, v14, v17, vcc_lo
	v_xor_b32_e32 v23, v13, v21
	v_mul_hi_u32 v24, v22, v3
	s_delay_alu instid0(VALU_DEP_3) | instskip(NEXT) | instid1(VALU_DEP_3)
	v_mad_u64_u32 v[13:14], null, v22, v15, 0
	v_mad_u64_u32 v[17:18], null, v23, v3, 0
	;; [unrolled: 1-line block ×3, first 2 shown]
	s_delay_alu instid0(VALU_DEP_3) | instskip(NEXT) | instid1(VALU_DEP_4)
	v_add_co_u32 v3, vcc_lo, v24, v13
	v_add_co_ci_u32_e32 v13, vcc_lo, 0, v14, vcc_lo
	s_delay_alu instid0(VALU_DEP_2) | instskip(NEXT) | instid1(VALU_DEP_2)
	v_add_co_u32 v3, vcc_lo, v3, v17
	v_add_co_ci_u32_e32 v3, vcc_lo, v13, v18, vcc_lo
	v_add_co_ci_u32_e32 v13, vcc_lo, 0, v20, vcc_lo
	s_delay_alu instid0(VALU_DEP_2) | instskip(NEXT) | instid1(VALU_DEP_2)
	v_add_co_u32 v3, vcc_lo, v3, v19
	v_add_co_ci_u32_e32 v15, vcc_lo, 0, v13, vcc_lo
	s_delay_alu instid0(VALU_DEP_2) | instskip(SKIP_1) | instid1(VALU_DEP_3)
	v_mul_lo_u32 v17, s11, v3
	v_mad_u64_u32 v[13:14], null, s10, v3, 0
	v_mul_lo_u32 v15, s10, v15
	s_delay_alu instid0(VALU_DEP_2) | instskip(NEXT) | instid1(VALU_DEP_2)
	v_sub_co_u32 v13, vcc_lo, v22, v13
	v_add3_u32 v14, v14, v15, v17
	v_add_co_u32 v17, s0, v3, 2
	s_delay_alu instid0(VALU_DEP_2) | instskip(NEXT) | instid1(VALU_DEP_1)
	v_sub_nc_u32_e32 v15, v23, v14
	v_subrev_co_ci_u32_e64 v15, s0, s11, v15, vcc_lo
	v_sub_co_u32 v18, s0, v13, s10
	v_sub_co_ci_u32_e32 v14, vcc_lo, v23, v14, vcc_lo
	s_delay_alu instid0(VALU_DEP_3) | instskip(NEXT) | instid1(VALU_DEP_3)
	v_subrev_co_ci_u32_e64 v15, s0, 0, v15, s0
	v_cmp_le_u32_e32 vcc_lo, s10, v18
	v_cndmask_b32_e64 v18, 0, -1, vcc_lo
	s_delay_alu instid0(VALU_DEP_3)
	v_cmp_le_u32_e32 vcc_lo, s11, v15
	v_cndmask_b32_e64 v19, 0, -1, vcc_lo
	v_cmp_le_u32_e32 vcc_lo, s10, v13
	v_cndmask_b32_e64 v13, 0, -1, vcc_lo
	;; [unrolled: 2-line block ×3, first 2 shown]
	v_cmp_eq_u32_e32 vcc_lo, s11, v15
	v_cndmask_b32_e32 v15, v19, v18, vcc_lo
	v_add_co_u32 v18, vcc_lo, v3, 1
	v_cmp_eq_u32_e32 vcc_lo, s11, v14
	v_cndmask_b32_e32 v13, v20, v13, vcc_lo
	s_delay_alu instid0(VALU_DEP_4) | instskip(NEXT) | instid1(VALU_DEP_4)
	v_cmp_ne_u32_e32 vcc_lo, 0, v15
	v_cndmask_b32_e32 v14, v18, v17, vcc_lo
	s_delay_alu instid0(VALU_DEP_3) | instskip(SKIP_1) | instid1(VALU_DEP_3)
	v_cmp_ne_u32_e32 vcc_lo, 0, v13
	v_xor_b32_e32 v13, s8, v21
	v_cndmask_b32_e32 v3, v3, v14, vcc_lo
	s_delay_alu instid0(VALU_DEP_1) | instskip(NEXT) | instid1(VALU_DEP_1)
	v_xor_b32_e32 v3, v3, v13
	v_sub_co_u32 v14, vcc_lo, v3, v13
.LBB2_15:                               ;   in Loop: Header=BB2_4 Depth=1
	s_and_not1_saveexec_b32 s0, s5
	s_cbranch_execz .LBB2_2
; %bb.16:                               ;   in Loop: Header=BB2_4 Depth=1
	v_cvt_f32_u32_e32 v3, s22
	s_sub_i32 s5, 0, s22
	s_delay_alu instid0(VALU_DEP_1) | instskip(SKIP_2) | instid1(VALU_DEP_1)
	v_rcp_iflag_f32_e32 v3, v3
	s_waitcnt_depctr 0xfff
	v_mul_f32_e32 v3, 0x4f7ffffe, v3
	v_cvt_u32_f32_e32 v3, v3
	s_delay_alu instid0(VALU_DEP_1) | instskip(NEXT) | instid1(VALU_DEP_1)
	v_mul_lo_u32 v13, s5, v3
	v_mul_hi_u32 v13, v3, v13
	s_delay_alu instid0(VALU_DEP_1) | instskip(NEXT) | instid1(VALU_DEP_1)
	v_add_nc_u32_e32 v3, v3, v13
	v_mul_hi_u32 v3, v12, v3
	s_delay_alu instid0(VALU_DEP_1) | instskip(SKIP_1) | instid1(VALU_DEP_2)
	v_mul_lo_u32 v13, v3, s22
	v_add_nc_u32_e32 v14, 1, v3
	v_sub_nc_u32_e32 v13, v12, v13
	s_delay_alu instid0(VALU_DEP_1) | instskip(SKIP_1) | instid1(VALU_DEP_4)
	v_cmp_le_u32_e32 vcc_lo, s22, v13
	v_subrev_nc_u32_e32 v15, s22, v13
	v_cndmask_b32_e32 v3, v3, v14, vcc_lo
	s_delay_alu instid0(VALU_DEP_1) | instskip(NEXT) | instid1(VALU_DEP_3)
	v_add_nc_u32_e32 v14, 1, v3
	v_cndmask_b32_e32 v13, v13, v15, vcc_lo
	s_delay_alu instid0(VALU_DEP_1) | instskip(NEXT) | instid1(VALU_DEP_3)
	v_cmp_le_u32_e32 vcc_lo, s22, v13
	v_cndmask_b32_e32 v14, v3, v14, vcc_lo
	s_branch .LBB2_2
.LBB2_17:
	s_or_b32 exec_lo, exec_lo, s1
	s_and_saveexec_b32 s0, s14
	s_delay_alu instid0(SALU_CYCLE_1)
	s_xor_b32 s0, exec_lo, s0
	s_cbranch_execnz .LBB2_19
.LBB2_18:
	s_nop 0
	s_sendmsg sendmsg(MSG_DEALLOC_VGPRS)
	s_endpgm
.LBB2_19:
	s_cbranch_execnz .LBB2_21
; %bb.20:
	; divergent unreachable
	s_nop 0
	s_sendmsg sendmsg(MSG_DEALLOC_VGPRS)
	s_endpgm
.LBB2_21:
	s_trap 2
	s_sendmsg_rtn_b32 s0, sendmsg(MSG_RTN_GET_DOORBELL)
	s_mov_b32 ttmp2, m0
	s_waitcnt lgkmcnt(0)
	s_and_b32 s0, s0, 0x3ff
	s_delay_alu instid0(SALU_CYCLE_1) | instskip(NEXT) | instid1(SALU_CYCLE_1)
	s_bitset1_b32 s0, 10
	s_mov_b32 m0, s0
	s_sendmsg sendmsg(MSG_INTERRUPT)
	s_mov_b32 m0, ttmp2
.LBB2_22:                               ; =>This Inner Loop Header: Depth=1
	s_sethalt 5
	s_branch .LBB2_22
	.section	.rodata,"a",@progbits
	.p2align	6, 0x0
	.amdhsa_kernel _ZN2at6native30max_unpooling2d_forward_kernelIiEEvlPKT_PKllllllPS2_
		.amdhsa_group_segment_fixed_size 0
		.amdhsa_private_segment_fixed_size 0
		.amdhsa_kernarg_size 328
		.amdhsa_user_sgpr_count 15
		.amdhsa_user_sgpr_dispatch_ptr 0
		.amdhsa_user_sgpr_queue_ptr 0
		.amdhsa_user_sgpr_kernarg_segment_ptr 1
		.amdhsa_user_sgpr_dispatch_id 0
		.amdhsa_user_sgpr_private_segment_size 0
		.amdhsa_wavefront_size32 1
		.amdhsa_uses_dynamic_stack 0
		.amdhsa_enable_private_segment 0
		.amdhsa_system_sgpr_workgroup_id_x 1
		.amdhsa_system_sgpr_workgroup_id_y 0
		.amdhsa_system_sgpr_workgroup_id_z 0
		.amdhsa_system_sgpr_workgroup_info 0
		.amdhsa_system_vgpr_workitem_id 0
		.amdhsa_next_free_vgpr 25
		.amdhsa_next_free_sgpr 32
		.amdhsa_reserve_vcc 1
		.amdhsa_float_round_mode_32 0
		.amdhsa_float_round_mode_16_64 0
		.amdhsa_float_denorm_mode_32 3
		.amdhsa_float_denorm_mode_16_64 3
		.amdhsa_dx10_clamp 1
		.amdhsa_ieee_mode 1
		.amdhsa_fp16_overflow 0
		.amdhsa_workgroup_processor_mode 1
		.amdhsa_memory_ordered 1
		.amdhsa_forward_progress 0
		.amdhsa_shared_vgpr_count 0
		.amdhsa_exception_fp_ieee_invalid_op 0
		.amdhsa_exception_fp_denorm_src 0
		.amdhsa_exception_fp_ieee_div_zero 0
		.amdhsa_exception_fp_ieee_overflow 0
		.amdhsa_exception_fp_ieee_underflow 0
		.amdhsa_exception_fp_ieee_inexact 0
		.amdhsa_exception_int_div_zero 0
	.end_amdhsa_kernel
	.section	.text._ZN2at6native30max_unpooling2d_forward_kernelIiEEvlPKT_PKllllllPS2_,"axG",@progbits,_ZN2at6native30max_unpooling2d_forward_kernelIiEEvlPKT_PKllllllPS2_,comdat
.Lfunc_end2:
	.size	_ZN2at6native30max_unpooling2d_forward_kernelIiEEvlPKT_PKllllllPS2_, .Lfunc_end2-_ZN2at6native30max_unpooling2d_forward_kernelIiEEvlPKT_PKllllllPS2_
                                        ; -- End function
	.section	.AMDGPU.csdata,"",@progbits
; Kernel info:
; codeLenInByte = 3572
; NumSgprs: 34
; NumVgprs: 25
; ScratchSize: 0
; MemoryBound: 0
; FloatMode: 240
; IeeeMode: 1
; LDSByteSize: 0 bytes/workgroup (compile time only)
; SGPRBlocks: 4
; VGPRBlocks: 3
; NumSGPRsForWavesPerEU: 34
; NumVGPRsForWavesPerEU: 25
; Occupancy: 16
; WaveLimiterHint : 1
; COMPUTE_PGM_RSRC2:SCRATCH_EN: 0
; COMPUTE_PGM_RSRC2:USER_SGPR: 15
; COMPUTE_PGM_RSRC2:TRAP_HANDLER: 0
; COMPUTE_PGM_RSRC2:TGID_X_EN: 1
; COMPUTE_PGM_RSRC2:TGID_Y_EN: 0
; COMPUTE_PGM_RSRC2:TGID_Z_EN: 0
; COMPUTE_PGM_RSRC2:TIDIG_COMP_CNT: 0
	.section	.text._ZN2at6native30max_unpooling2d_forward_kernelIlEEvlPKT_PKllllllPS2_,"axG",@progbits,_ZN2at6native30max_unpooling2d_forward_kernelIlEEvlPKT_PKllllllPS2_,comdat
	.protected	_ZN2at6native30max_unpooling2d_forward_kernelIlEEvlPKT_PKllllllPS2_ ; -- Begin function _ZN2at6native30max_unpooling2d_forward_kernelIlEEvlPKT_PKllllllPS2_
	.globl	_ZN2at6native30max_unpooling2d_forward_kernelIlEEvlPKT_PKllllllPS2_
	.p2align	8
	.type	_ZN2at6native30max_unpooling2d_forward_kernelIlEEvlPKT_PKllllllPS2_,@function
_ZN2at6native30max_unpooling2d_forward_kernelIlEEvlPKT_PKllllllPS2_: ; @_ZN2at6native30max_unpooling2d_forward_kernelIlEEvlPKT_PKllllllPS2_
; %bb.0:
	s_clause 0x1
	s_load_b32 s4, s[0:1], 0x54
	s_load_b512 s[16:31], s[0:1], 0x0
	v_mov_b32_e32 v2, 0
	s_add_u32 s2, s0, 0x48
	s_addc_u32 s3, s1, 0
	s_mov_b32 s5, exec_lo
	s_delay_alu instid0(VALU_DEP_1)
	v_mov_b32_e32 v1, v2
	s_waitcnt lgkmcnt(0)
	s_and_b32 s4, s4, 0xffff
	s_delay_alu instid0(VALU_DEP_1) | instid1(SALU_CYCLE_1)
	v_mad_u64_u32 v[4:5], null, s4, s15, v[0:1]
	s_delay_alu instid0(VALU_DEP_1)
	v_cmpx_gt_i64_e64 s[16:17], v[4:5]
	s_cbranch_execz .LBB3_18
; %bb.1:
	v_cvt_f32_u32_e32 v0, s26
	s_load_b64 s[6:7], s[0:1], 0x40
	s_load_b32 s5, s[2:3], 0x0
	s_sub_i32 s0, 0, s26
	s_mul_hi_u32 s3, s30, s28
	v_rcp_iflag_f32_e32 v0, v0
	s_mul_i32 s8, s31, s28
	s_mul_i32 s2, s30, s28
	s_mov_b32 s1, 0
                                        ; implicit-def: $sgpr14
                                        ; implicit-def: $sgpr28
                                        ; implicit-def: $sgpr15
	s_waitcnt_depctr 0xfff
	v_dual_mov_b32 v3, v4 :: v_dual_mul_f32 v0, 0x4f7ffffe, v0
	s_delay_alu instid0(VALU_DEP_1)
	v_cvt_u32_f32_e32 v6, v0
	s_waitcnt lgkmcnt(0)
	s_mul_i32 s12, s5, s4
	s_ashr_i32 s4, s27, 31
	s_mov_b32 s13, s12
	v_mul_lo_u32 v0, s0, v6
	s_mul_i32 s0, s30, s29
	s_delay_alu instid0(SALU_CYCLE_1) | instskip(NEXT) | instid1(SALU_CYCLE_1)
	s_add_i32 s0, s3, s0
	s_add_i32 s3, s0, s8
	s_delay_alu instid0(VALU_DEP_1) | instskip(SKIP_2) | instid1(VALU_DEP_2)
	v_mul_hi_u32 v7, v6, v0
	v_dual_mov_b32 v0, s6 :: v_dual_mov_b32 v1, s7
	s_ashr_i32 s6, s25, 31
	v_dual_mov_b32 v7, v3 :: v_dual_add_nc_u32 v16, v6, v7
	v_mov_b32_e32 v6, v2
	s_branch .LBB3_4
.LBB3_2:                                ;   in Loop: Header=BB3_4 Depth=1
	s_or_b32 exec_lo, exec_lo, s0
	v_lshlrev_b64 v[10:11], 3, v[10:11]
	s_delay_alu instid0(VALU_DEP_2) | instskip(SKIP_2) | instid1(VALU_DEP_1)
	v_mul_lo_u32 v3, v14, s22
	v_lshlrev_b64 v[8:9], 3, v[8:9]
	v_add_co_u32 v6, s0, v6, 0
	v_add_co_ci_u32_e64 v7, s0, s13, v7, s0
	v_add_co_u32 v10, vcc_lo, s18, v10
	v_add_co_ci_u32_e32 v11, vcc_lo, s19, v11, vcc_lo
	v_sub_nc_u32_e32 v12, v12, v3
	v_ashrrev_i32_e32 v3, 31, v14
	s_and_not1_b32 s0, s28, exec_lo
	global_load_b64 v[10:11], v[10:11], off
	s_and_not1_b32 s15, s15, exec_lo
	v_ashrrev_i32_e32 v13, 31, v12
	v_mul_lo_u32 v3, v3, s22
	s_delay_alu instid0(VALU_DEP_2) | instskip(SKIP_1) | instid1(VALU_DEP_2)
	v_mad_u64_u32 v[17:18], null, v14, s22, v[12:13]
	v_mul_lo_u32 v12, v14, s23
	v_mul_lo_u32 v14, s3, v17
	s_delay_alu instid0(VALU_DEP_2) | instskip(SKIP_1) | instid1(VALU_DEP_2)
	v_add3_u32 v3, v3, v18, v12
	v_mad_u64_u32 v[12:13], null, s2, v17, 0
	v_mul_lo_u32 v3, s2, v3
	s_delay_alu instid0(VALU_DEP_1) | instskip(NEXT) | instid1(VALU_DEP_1)
	v_add3_u32 v13, v13, v3, v14
	v_lshlrev_b64 v[12:13], 3, v[12:13]
	s_delay_alu instid0(VALU_DEP_1) | instskip(NEXT) | instid1(VALU_DEP_2)
	v_add_co_u32 v0, vcc_lo, v0, v12
	v_add_co_ci_u32_e32 v1, vcc_lo, v1, v13, vcc_lo
	v_add_co_u32 v4, vcc_lo, v4, s12
	v_add_co_ci_u32_e32 v5, vcc_lo, 0, v5, vcc_lo
	s_delay_alu instid0(VALU_DEP_4) | instskip(NEXT) | instid1(VALU_DEP_4)
	v_add_co_u32 v8, vcc_lo, v0, v8
	v_add_co_ci_u32_e32 v9, vcc_lo, v1, v9, vcc_lo
	s_delay_alu instid0(VALU_DEP_3) | instskip(SKIP_1) | instid1(SALU_CYCLE_1)
	v_cmp_le_i64_e32 vcc_lo, s[16:17], v[4:5]
	s_and_b32 s5, vcc_lo, exec_lo
	s_or_b32 s28, s0, s5
	s_waitcnt vmcnt(0)
	global_store_b64 v[8:9], v[10:11], off
.LBB3_3:                                ;   in Loop: Header=BB3_4 Depth=1
	s_or_b32 exec_lo, exec_lo, s29
	s_delay_alu instid0(SALU_CYCLE_1) | instskip(NEXT) | instid1(SALU_CYCLE_1)
	s_and_b32 s0, exec_lo, s28
	s_or_b32 s1, s0, s1
	s_and_not1_b32 s0, s14, exec_lo
	s_and_b32 s5, s15, exec_lo
	s_delay_alu instid0(SALU_CYCLE_1)
	s_or_b32 s14, s0, s5
	s_and_not1_b32 exec_lo, exec_lo, s1
	s_cbranch_execz .LBB3_17
.LBB3_4:                                ; =>This Inner Loop Header: Depth=1
	s_delay_alu instid0(VALU_DEP_1) | instskip(SKIP_2) | instid1(VALU_DEP_1)
	v_ashrrev_i64 v[8:9], 29, v[6:7]
	s_or_b32 s15, s15, exec_lo
	s_or_b32 s28, s28, exec_lo
	v_add_co_u32 v8, vcc_lo, s20, v8
	s_delay_alu instid0(VALU_DEP_2) | instskip(SKIP_4) | instid1(VALU_DEP_2)
	v_add_co_ci_u32_e32 v9, vcc_lo, s21, v9, vcc_lo
	global_load_b64 v[8:9], v[8:9], off
	s_waitcnt vmcnt(0)
	v_ashrrev_i32_e32 v9, 31, v8
	v_cmp_lt_i32_e64 s0, -1, v8
	v_cmp_gt_i64_e32 vcc_lo, s[2:3], v[8:9]
	s_delay_alu instid0(VALU_DEP_2) | instskip(NEXT) | instid1(SALU_CYCLE_1)
	s_and_b32 s0, s0, vcc_lo
	s_and_saveexec_b32 s29, s0
	s_cbranch_execz .LBB3_3
; %bb.5:                                ;   in Loop: Header=BB3_4 Depth=1
	v_ashrrev_i32_e32 v11, 31, v7
	v_mov_b32_e32 v10, v7
                                        ; implicit-def: $vgpr14_vgpr15
	s_mov_b32 s0, exec_lo
	s_delay_alu instid0(VALU_DEP_2) | instskip(NEXT) | instid1(VALU_DEP_1)
	v_or_b32_e32 v3, s27, v11
	v_cmpx_ne_u64_e32 0, v[2:3]
	s_xor_b32 s7, exec_lo, s0
	s_cbranch_execz .LBB3_7
; %bb.6:                                ;   in Loop: Header=BB3_4 Depth=1
	s_add_u32 s8, s26, s4
	s_mov_b32 s5, s4
	s_addc_u32 s9, s27, s4
	s_delay_alu instid0(SALU_CYCLE_1) | instskip(NEXT) | instid1(SALU_CYCLE_1)
	s_xor_b64 s[8:9], s[8:9], s[4:5]
	v_cvt_f32_u32_e32 v3, s8
	v_cvt_f32_u32_e32 v12, s9
	s_sub_u32 s0, 0, s8
	s_subb_u32 s5, 0, s9
	s_delay_alu instid0(VALU_DEP_1) | instskip(NEXT) | instid1(VALU_DEP_1)
	v_fmac_f32_e32 v3, 0x4f800000, v12
	v_rcp_f32_e32 v3, v3
	s_waitcnt_depctr 0xfff
	v_mul_f32_e32 v3, 0x5f7ffffc, v3
	s_delay_alu instid0(VALU_DEP_1) | instskip(NEXT) | instid1(VALU_DEP_1)
	v_mul_f32_e32 v12, 0x2f800000, v3
	v_trunc_f32_e32 v12, v12
	s_delay_alu instid0(VALU_DEP_1) | instskip(SKIP_1) | instid1(VALU_DEP_2)
	v_fmac_f32_e32 v3, 0xcf800000, v12
	v_cvt_u32_f32_e32 v12, v12
	v_cvt_u32_f32_e32 v3, v3
	s_delay_alu instid0(VALU_DEP_2) | instskip(NEXT) | instid1(VALU_DEP_2)
	v_mul_lo_u32 v13, s0, v12
	v_mul_hi_u32 v14, s0, v3
	v_mul_lo_u32 v15, s5, v3
	s_delay_alu instid0(VALU_DEP_2) | instskip(SKIP_1) | instid1(VALU_DEP_2)
	v_add_nc_u32_e32 v13, v14, v13
	v_mul_lo_u32 v14, s0, v3
	v_add_nc_u32_e32 v13, v13, v15
	s_delay_alu instid0(VALU_DEP_2) | instskip(NEXT) | instid1(VALU_DEP_2)
	v_mul_hi_u32 v15, v3, v14
	v_mul_lo_u32 v17, v3, v13
	v_mul_hi_u32 v18, v3, v13
	v_mul_hi_u32 v19, v12, v14
	v_mul_lo_u32 v14, v12, v14
	v_mul_hi_u32 v20, v12, v13
	v_mul_lo_u32 v13, v12, v13
	v_add_co_u32 v15, vcc_lo, v15, v17
	v_add_co_ci_u32_e32 v17, vcc_lo, 0, v18, vcc_lo
	s_delay_alu instid0(VALU_DEP_2) | instskip(NEXT) | instid1(VALU_DEP_2)
	v_add_co_u32 v14, vcc_lo, v15, v14
	v_add_co_ci_u32_e32 v14, vcc_lo, v17, v19, vcc_lo
	v_add_co_ci_u32_e32 v15, vcc_lo, 0, v20, vcc_lo
	v_ashrrev_i32_e32 v19, 31, v11
	s_delay_alu instid0(VALU_DEP_3) | instskip(NEXT) | instid1(VALU_DEP_3)
	v_add_co_u32 v13, vcc_lo, v14, v13
	v_add_co_ci_u32_e32 v14, vcc_lo, 0, v15, vcc_lo
	s_delay_alu instid0(VALU_DEP_2) | instskip(NEXT) | instid1(VALU_DEP_2)
	v_add_co_u32 v3, vcc_lo, v3, v13
	v_add_co_ci_u32_e32 v12, vcc_lo, v12, v14, vcc_lo
	s_delay_alu instid0(VALU_DEP_2) | instskip(SKIP_1) | instid1(VALU_DEP_3)
	v_mul_hi_u32 v13, s0, v3
	v_mul_lo_u32 v15, s5, v3
	v_mul_lo_u32 v14, s0, v12
	s_delay_alu instid0(VALU_DEP_1) | instskip(SKIP_1) | instid1(VALU_DEP_2)
	v_add_nc_u32_e32 v13, v13, v14
	v_mul_lo_u32 v14, s0, v3
	v_add_nc_u32_e32 v13, v13, v15
	s_delay_alu instid0(VALU_DEP_2) | instskip(NEXT) | instid1(VALU_DEP_2)
	v_mul_hi_u32 v15, v3, v14
	v_mul_lo_u32 v17, v3, v13
	v_mul_hi_u32 v18, v3, v13
	v_mul_hi_u32 v20, v12, v14
	v_mul_lo_u32 v14, v12, v14
	v_mul_hi_u32 v21, v12, v13
	v_mul_lo_u32 v13, v12, v13
	v_add_co_u32 v15, vcc_lo, v15, v17
	v_add_co_ci_u32_e32 v17, vcc_lo, 0, v18, vcc_lo
	s_delay_alu instid0(VALU_DEP_2) | instskip(NEXT) | instid1(VALU_DEP_2)
	v_add_co_u32 v14, vcc_lo, v15, v14
	v_add_co_ci_u32_e32 v14, vcc_lo, v17, v20, vcc_lo
	v_add_co_ci_u32_e32 v15, vcc_lo, 0, v21, vcc_lo
	v_add_co_u32 v17, vcc_lo, v10, v19
	v_add_co_ci_u32_e32 v18, vcc_lo, v11, v19, vcc_lo
	s_delay_alu instid0(VALU_DEP_4) | instskip(NEXT) | instid1(VALU_DEP_4)
	v_add_co_u32 v13, vcc_lo, v14, v13
	v_add_co_ci_u32_e32 v14, vcc_lo, 0, v15, vcc_lo
	s_delay_alu instid0(VALU_DEP_4) | instskip(NEXT) | instid1(VALU_DEP_3)
	v_xor_b32_e32 v20, v17, v19
	v_add_co_u32 v3, vcc_lo, v3, v13
	s_delay_alu instid0(VALU_DEP_3) | instskip(SKIP_1) | instid1(VALU_DEP_3)
	v_add_co_ci_u32_e32 v21, vcc_lo, v12, v14, vcc_lo
	v_xor_b32_e32 v22, v18, v19
	v_mul_hi_u32 v23, v20, v3
	s_delay_alu instid0(VALU_DEP_3) | instskip(NEXT) | instid1(VALU_DEP_3)
	v_mad_u64_u32 v[12:13], null, v20, v21, 0
	v_mad_u64_u32 v[14:15], null, v22, v3, 0
	;; [unrolled: 1-line block ×3, first 2 shown]
	s_delay_alu instid0(VALU_DEP_3) | instskip(NEXT) | instid1(VALU_DEP_4)
	v_add_co_u32 v3, vcc_lo, v23, v12
	v_add_co_ci_u32_e32 v12, vcc_lo, 0, v13, vcc_lo
	s_delay_alu instid0(VALU_DEP_2) | instskip(NEXT) | instid1(VALU_DEP_2)
	v_add_co_u32 v3, vcc_lo, v3, v14
	v_add_co_ci_u32_e32 v3, vcc_lo, v12, v15, vcc_lo
	v_add_co_ci_u32_e32 v12, vcc_lo, 0, v18, vcc_lo
	s_delay_alu instid0(VALU_DEP_2) | instskip(NEXT) | instid1(VALU_DEP_2)
	v_add_co_u32 v3, vcc_lo, v3, v17
	v_add_co_ci_u32_e32 v14, vcc_lo, 0, v12, vcc_lo
	s_delay_alu instid0(VALU_DEP_2) | instskip(SKIP_1) | instid1(VALU_DEP_3)
	v_mul_lo_u32 v15, s9, v3
	v_mad_u64_u32 v[12:13], null, s8, v3, 0
	v_mul_lo_u32 v17, s8, v14
	s_delay_alu instid0(VALU_DEP_2) | instskip(NEXT) | instid1(VALU_DEP_2)
	v_sub_co_u32 v12, vcc_lo, v20, v12
	v_add3_u32 v13, v13, v17, v15
	s_delay_alu instid0(VALU_DEP_1) | instskip(NEXT) | instid1(VALU_DEP_1)
	v_sub_nc_u32_e32 v15, v22, v13
	v_subrev_co_ci_u32_e64 v15, s0, s9, v15, vcc_lo
	v_add_co_u32 v17, s0, v3, 2
	s_delay_alu instid0(VALU_DEP_1) | instskip(SKIP_3) | instid1(VALU_DEP_3)
	v_add_co_ci_u32_e64 v18, s0, 0, v14, s0
	v_sub_co_u32 v20, s0, v12, s8
	v_sub_co_ci_u32_e32 v13, vcc_lo, v22, v13, vcc_lo
	v_subrev_co_ci_u32_e64 v15, s0, 0, v15, s0
	v_cmp_le_u32_e32 vcc_lo, s8, v20
	s_delay_alu instid0(VALU_DEP_3) | instskip(SKIP_1) | instid1(VALU_DEP_4)
	v_cmp_eq_u32_e64 s0, s9, v13
	v_cndmask_b32_e64 v20, 0, -1, vcc_lo
	v_cmp_le_u32_e32 vcc_lo, s9, v15
	v_cndmask_b32_e64 v21, 0, -1, vcc_lo
	v_cmp_le_u32_e32 vcc_lo, s8, v12
	v_cndmask_b32_e64 v12, 0, -1, vcc_lo
	v_cmp_le_u32_e32 vcc_lo, s9, v13
	v_cndmask_b32_e64 v22, 0, -1, vcc_lo
	v_cmp_eq_u32_e32 vcc_lo, s9, v15
	s_delay_alu instid0(VALU_DEP_2) | instskip(SKIP_3) | instid1(VALU_DEP_3)
	v_cndmask_b32_e64 v12, v22, v12, s0
	v_cndmask_b32_e32 v15, v21, v20, vcc_lo
	v_add_co_u32 v20, vcc_lo, v3, 1
	v_add_co_ci_u32_e32 v21, vcc_lo, 0, v14, vcc_lo
	v_cmp_ne_u32_e32 vcc_lo, 0, v15
	s_delay_alu instid0(VALU_DEP_2) | instskip(NEXT) | instid1(VALU_DEP_4)
	v_cndmask_b32_e32 v13, v21, v18, vcc_lo
	v_cndmask_b32_e32 v15, v20, v17, vcc_lo
	v_cmp_ne_u32_e32 vcc_lo, 0, v12
	v_xor_b32_e32 v12, s4, v19
	s_delay_alu instid0(VALU_DEP_3) | instskip(SKIP_1) | instid1(VALU_DEP_2)
	v_cndmask_b32_e32 v3, v3, v15, vcc_lo
	v_cndmask_b32_e32 v13, v14, v13, vcc_lo
	v_xor_b32_e32 v3, v3, v12
	s_delay_alu instid0(VALU_DEP_2) | instskip(NEXT) | instid1(VALU_DEP_2)
	v_xor_b32_e32 v13, v13, v12
	v_sub_co_u32 v14, vcc_lo, v3, v12
	s_delay_alu instid0(VALU_DEP_2)
	v_sub_co_ci_u32_e32 v15, vcc_lo, v13, v12, vcc_lo
.LBB3_7:                                ;   in Loop: Header=BB3_4 Depth=1
	s_and_not1_saveexec_b32 s0, s7
; %bb.8:                                ;   in Loop: Header=BB3_4 Depth=1
	v_mul_hi_u32 v3, v7, v16
	v_mov_b32_e32 v15, v2
	s_delay_alu instid0(VALU_DEP_2) | instskip(NEXT) | instid1(VALU_DEP_1)
	v_mul_lo_u32 v12, v3, s26
	v_sub_nc_u32_e32 v12, v7, v12
	s_delay_alu instid0(VALU_DEP_1) | instskip(SKIP_1) | instid1(VALU_DEP_2)
	v_subrev_nc_u32_e32 v14, s26, v12
	v_cmp_le_u32_e32 vcc_lo, s26, v12
	v_dual_cndmask_b32 v12, v12, v14 :: v_dual_add_nc_u32 v13, 1, v3
	s_delay_alu instid0(VALU_DEP_1) | instskip(NEXT) | instid1(VALU_DEP_2)
	v_cndmask_b32_e32 v3, v3, v13, vcc_lo
	v_cmp_le_u32_e32 vcc_lo, s26, v12
	s_delay_alu instid0(VALU_DEP_2) | instskip(NEXT) | instid1(VALU_DEP_1)
	v_add_nc_u32_e32 v13, 1, v3
	v_cndmask_b32_e32 v14, v3, v13, vcc_lo
; %bb.9:                                ;   in Loop: Header=BB3_4 Depth=1
	s_or_b32 exec_lo, exec_lo, s0
	v_or_b32_e32 v3, s25, v15
                                        ; implicit-def: $vgpr12_vgpr13
	s_mov_b32 s0, exec_lo
	s_delay_alu instid0(VALU_DEP_1)
	v_cmpx_ne_u64_e32 0, v[2:3]
	s_xor_b32 s5, exec_lo, s0
	s_cbranch_execz .LBB3_11
; %bb.10:                               ;   in Loop: Header=BB3_4 Depth=1
	s_add_u32 s8, s24, s6
	s_mov_b32 s7, s6
	s_addc_u32 s9, s25, s6
	s_delay_alu instid0(SALU_CYCLE_1) | instskip(NEXT) | instid1(SALU_CYCLE_1)
	s_xor_b64 s[8:9], s[8:9], s[6:7]
	v_cvt_f32_u32_e32 v3, s8
	v_cvt_f32_u32_e32 v12, s9
	s_sub_u32 s0, 0, s8
	s_subb_u32 s7, 0, s9
	s_delay_alu instid0(VALU_DEP_1) | instskip(NEXT) | instid1(VALU_DEP_1)
	v_fmac_f32_e32 v3, 0x4f800000, v12
	v_rcp_f32_e32 v3, v3
	s_waitcnt_depctr 0xfff
	v_mul_f32_e32 v3, 0x5f7ffffc, v3
	s_delay_alu instid0(VALU_DEP_1) | instskip(NEXT) | instid1(VALU_DEP_1)
	v_mul_f32_e32 v12, 0x2f800000, v3
	v_trunc_f32_e32 v12, v12
	s_delay_alu instid0(VALU_DEP_1) | instskip(SKIP_1) | instid1(VALU_DEP_2)
	v_fmac_f32_e32 v3, 0xcf800000, v12
	v_cvt_u32_f32_e32 v12, v12
	v_cvt_u32_f32_e32 v3, v3
	s_delay_alu instid0(VALU_DEP_2) | instskip(NEXT) | instid1(VALU_DEP_2)
	v_mul_lo_u32 v13, s0, v12
	v_mul_hi_u32 v17, s0, v3
	v_mul_lo_u32 v18, s7, v3
	s_delay_alu instid0(VALU_DEP_2) | instskip(SKIP_1) | instid1(VALU_DEP_2)
	v_add_nc_u32_e32 v13, v17, v13
	v_mul_lo_u32 v17, s0, v3
	v_add_nc_u32_e32 v13, v13, v18
	s_delay_alu instid0(VALU_DEP_2) | instskip(NEXT) | instid1(VALU_DEP_2)
	v_mul_hi_u32 v18, v3, v17
	v_mul_lo_u32 v19, v3, v13
	v_mul_hi_u32 v20, v3, v13
	v_mul_hi_u32 v21, v12, v17
	v_mul_lo_u32 v17, v12, v17
	v_mul_hi_u32 v22, v12, v13
	v_mul_lo_u32 v13, v12, v13
	v_add_co_u32 v18, vcc_lo, v18, v19
	v_add_co_ci_u32_e32 v19, vcc_lo, 0, v20, vcc_lo
	s_delay_alu instid0(VALU_DEP_2) | instskip(NEXT) | instid1(VALU_DEP_2)
	v_add_co_u32 v17, vcc_lo, v18, v17
	v_add_co_ci_u32_e32 v17, vcc_lo, v19, v21, vcc_lo
	v_add_co_ci_u32_e32 v18, vcc_lo, 0, v22, vcc_lo
	v_ashrrev_i32_e32 v21, 31, v15
	s_delay_alu instid0(VALU_DEP_3) | instskip(NEXT) | instid1(VALU_DEP_3)
	v_add_co_u32 v13, vcc_lo, v17, v13
	v_add_co_ci_u32_e32 v17, vcc_lo, 0, v18, vcc_lo
	s_delay_alu instid0(VALU_DEP_2) | instskip(NEXT) | instid1(VALU_DEP_2)
	v_add_co_u32 v3, vcc_lo, v3, v13
	v_add_co_ci_u32_e32 v12, vcc_lo, v12, v17, vcc_lo
	s_delay_alu instid0(VALU_DEP_2) | instskip(SKIP_1) | instid1(VALU_DEP_3)
	v_mul_hi_u32 v13, s0, v3
	v_mul_lo_u32 v18, s7, v3
	v_mul_lo_u32 v17, s0, v12
	s_delay_alu instid0(VALU_DEP_1) | instskip(SKIP_1) | instid1(VALU_DEP_2)
	v_add_nc_u32_e32 v13, v13, v17
	v_mul_lo_u32 v17, s0, v3
	v_add_nc_u32_e32 v13, v13, v18
	s_delay_alu instid0(VALU_DEP_2) | instskip(NEXT) | instid1(VALU_DEP_2)
	v_mul_hi_u32 v18, v3, v17
	v_mul_lo_u32 v19, v3, v13
	v_mul_hi_u32 v20, v3, v13
	v_mul_hi_u32 v22, v12, v17
	v_mul_lo_u32 v17, v12, v17
	v_mul_hi_u32 v23, v12, v13
	v_mul_lo_u32 v13, v12, v13
	v_add_co_u32 v18, vcc_lo, v18, v19
	v_add_co_ci_u32_e32 v19, vcc_lo, 0, v20, vcc_lo
	s_delay_alu instid0(VALU_DEP_2) | instskip(NEXT) | instid1(VALU_DEP_2)
	v_add_co_u32 v17, vcc_lo, v18, v17
	v_add_co_ci_u32_e32 v17, vcc_lo, v19, v22, vcc_lo
	v_add_co_ci_u32_e32 v18, vcc_lo, 0, v23, vcc_lo
	v_add_co_u32 v14, vcc_lo, v14, v21
	v_add_co_ci_u32_e32 v15, vcc_lo, v15, v21, vcc_lo
	s_delay_alu instid0(VALU_DEP_4) | instskip(NEXT) | instid1(VALU_DEP_4)
	v_add_co_u32 v13, vcc_lo, v17, v13
	v_add_co_ci_u32_e32 v17, vcc_lo, 0, v18, vcc_lo
	s_delay_alu instid0(VALU_DEP_4) | instskip(NEXT) | instid1(VALU_DEP_3)
	v_xor_b32_e32 v19, v14, v21
	v_add_co_u32 v3, vcc_lo, v3, v13
	s_delay_alu instid0(VALU_DEP_3) | instskip(SKIP_1) | instid1(VALU_DEP_3)
	v_add_co_ci_u32_e32 v20, vcc_lo, v12, v17, vcc_lo
	v_xor_b32_e32 v22, v15, v21
	v_mul_hi_u32 v23, v19, v3
	s_delay_alu instid0(VALU_DEP_3) | instskip(NEXT) | instid1(VALU_DEP_3)
	v_mad_u64_u32 v[12:13], null, v19, v20, 0
	v_mad_u64_u32 v[14:15], null, v22, v3, 0
	;; [unrolled: 1-line block ×3, first 2 shown]
	s_delay_alu instid0(VALU_DEP_3) | instskip(NEXT) | instid1(VALU_DEP_4)
	v_add_co_u32 v3, vcc_lo, v23, v12
	v_add_co_ci_u32_e32 v12, vcc_lo, 0, v13, vcc_lo
	s_delay_alu instid0(VALU_DEP_2) | instskip(NEXT) | instid1(VALU_DEP_2)
	v_add_co_u32 v3, vcc_lo, v3, v14
	v_add_co_ci_u32_e32 v3, vcc_lo, v12, v15, vcc_lo
	v_add_co_ci_u32_e32 v12, vcc_lo, 0, v18, vcc_lo
	s_delay_alu instid0(VALU_DEP_2) | instskip(NEXT) | instid1(VALU_DEP_2)
	v_add_co_u32 v3, vcc_lo, v3, v17
	v_add_co_ci_u32_e32 v14, vcc_lo, 0, v12, vcc_lo
	s_delay_alu instid0(VALU_DEP_2) | instskip(SKIP_1) | instid1(VALU_DEP_3)
	v_mul_lo_u32 v15, s9, v3
	v_mad_u64_u32 v[12:13], null, s8, v3, 0
	v_mul_lo_u32 v17, s8, v14
	s_delay_alu instid0(VALU_DEP_2) | instskip(NEXT) | instid1(VALU_DEP_2)
	v_sub_co_u32 v12, vcc_lo, v19, v12
	v_add3_u32 v13, v13, v17, v15
	s_delay_alu instid0(VALU_DEP_1) | instskip(NEXT) | instid1(VALU_DEP_1)
	v_sub_nc_u32_e32 v15, v22, v13
	v_subrev_co_ci_u32_e64 v15, s0, s9, v15, vcc_lo
	v_add_co_u32 v17, s0, v3, 2
	s_delay_alu instid0(VALU_DEP_1) | instskip(SKIP_3) | instid1(VALU_DEP_3)
	v_add_co_ci_u32_e64 v18, s0, 0, v14, s0
	v_sub_co_u32 v19, s0, v12, s8
	v_sub_co_ci_u32_e32 v13, vcc_lo, v22, v13, vcc_lo
	v_subrev_co_ci_u32_e64 v15, s0, 0, v15, s0
	v_cmp_le_u32_e32 vcc_lo, s8, v19
	s_delay_alu instid0(VALU_DEP_3) | instskip(SKIP_1) | instid1(VALU_DEP_4)
	v_cmp_eq_u32_e64 s0, s9, v13
	v_cndmask_b32_e64 v19, 0, -1, vcc_lo
	v_cmp_le_u32_e32 vcc_lo, s9, v15
	v_cndmask_b32_e64 v20, 0, -1, vcc_lo
	v_cmp_le_u32_e32 vcc_lo, s8, v12
	;; [unrolled: 2-line block ×3, first 2 shown]
	v_cndmask_b32_e64 v22, 0, -1, vcc_lo
	v_cmp_eq_u32_e32 vcc_lo, s9, v15
	s_delay_alu instid0(VALU_DEP_2) | instskip(SKIP_3) | instid1(VALU_DEP_3)
	v_cndmask_b32_e64 v12, v22, v12, s0
	v_cndmask_b32_e32 v15, v20, v19, vcc_lo
	v_add_co_u32 v19, vcc_lo, v3, 1
	v_add_co_ci_u32_e32 v20, vcc_lo, 0, v14, vcc_lo
	v_cmp_ne_u32_e32 vcc_lo, 0, v15
	s_delay_alu instid0(VALU_DEP_2) | instskip(NEXT) | instid1(VALU_DEP_4)
	v_cndmask_b32_e32 v13, v20, v18, vcc_lo
	v_cndmask_b32_e32 v15, v19, v17, vcc_lo
	v_cmp_ne_u32_e32 vcc_lo, 0, v12
	v_xor_b32_e32 v17, s6, v21
	s_delay_alu instid0(VALU_DEP_3) | instskip(NEXT) | instid1(VALU_DEP_1)
	v_dual_cndmask_b32 v3, v3, v15 :: v_dual_cndmask_b32 v12, v14, v13
                                        ; implicit-def: $vgpr14_vgpr15
	v_xor_b32_e32 v3, v3, v17
	s_delay_alu instid0(VALU_DEP_2) | instskip(NEXT) | instid1(VALU_DEP_2)
	v_xor_b32_e32 v13, v12, v17
	v_sub_co_u32 v12, vcc_lo, v3, v17
	s_delay_alu instid0(VALU_DEP_2)
	v_sub_co_ci_u32_e32 v13, vcc_lo, v13, v17, vcc_lo
.LBB3_11:                               ;   in Loop: Header=BB3_4 Depth=1
	s_and_not1_saveexec_b32 s0, s5
	s_cbranch_execz .LBB3_13
; %bb.12:                               ;   in Loop: Header=BB3_4 Depth=1
	v_cvt_f32_u32_e32 v3, s24
	s_sub_i32 s5, 0, s24
	s_delay_alu instid0(VALU_DEP_1) | instskip(SKIP_2) | instid1(VALU_DEP_1)
	v_rcp_iflag_f32_e32 v3, v3
	s_waitcnt_depctr 0xfff
	v_mul_f32_e32 v3, 0x4f7ffffe, v3
	v_cvt_u32_f32_e32 v3, v3
	s_delay_alu instid0(VALU_DEP_1) | instskip(NEXT) | instid1(VALU_DEP_1)
	v_mul_lo_u32 v12, s5, v3
	v_mul_hi_u32 v12, v3, v12
	s_delay_alu instid0(VALU_DEP_1) | instskip(NEXT) | instid1(VALU_DEP_1)
	v_add_nc_u32_e32 v3, v3, v12
	v_mul_hi_u32 v3, v14, v3
	s_delay_alu instid0(VALU_DEP_1) | instskip(SKIP_1) | instid1(VALU_DEP_2)
	v_mul_lo_u32 v12, v3, s24
	v_add_nc_u32_e32 v13, 1, v3
	v_sub_nc_u32_e32 v12, v14, v12
	s_delay_alu instid0(VALU_DEP_1) | instskip(SKIP_1) | instid1(VALU_DEP_2)
	v_subrev_nc_u32_e32 v14, s24, v12
	v_cmp_le_u32_e32 vcc_lo, s24, v12
	v_dual_cndmask_b32 v12, v12, v14 :: v_dual_cndmask_b32 v3, v3, v13
	s_delay_alu instid0(VALU_DEP_1) | instskip(NEXT) | instid1(VALU_DEP_2)
	v_cmp_le_u32_e32 vcc_lo, s24, v12
	v_add_nc_u32_e32 v13, 1, v3
	s_delay_alu instid0(VALU_DEP_1)
	v_dual_cndmask_b32 v12, v3, v13 :: v_dual_mov_b32 v13, v2
.LBB3_13:                               ;   in Loop: Header=BB3_4 Depth=1
	s_or_b32 exec_lo, exec_lo, s0
	s_delay_alu instid0(VALU_DEP_1) | instskip(SKIP_1) | instid1(VALU_DEP_1)
	v_or_b32_e32 v3, s23, v13
                                        ; implicit-def: $vgpr14_vgpr15
	s_mov_b32 s0, exec_lo
	v_cmpx_ne_u64_e32 0, v[2:3]
	s_xor_b32 s5, exec_lo, s0
	s_cbranch_execz .LBB3_15
; %bb.14:                               ;   in Loop: Header=BB3_4 Depth=1
	s_ashr_i32 s8, s23, 31
	s_delay_alu instid0(SALU_CYCLE_1) | instskip(SKIP_2) | instid1(SALU_CYCLE_1)
	s_add_u32 s10, s22, s8
	s_mov_b32 s9, s8
	s_addc_u32 s11, s23, s8
	s_xor_b64 s[10:11], s[10:11], s[8:9]
	s_delay_alu instid0(SALU_CYCLE_1) | instskip(SKIP_3) | instid1(VALU_DEP_1)
	v_cvt_f32_u32_e32 v3, s10
	v_cvt_f32_u32_e32 v14, s11
	s_sub_u32 s0, 0, s10
	s_subb_u32 s7, 0, s11
	v_fmac_f32_e32 v3, 0x4f800000, v14
	s_delay_alu instid0(VALU_DEP_1) | instskip(SKIP_2) | instid1(VALU_DEP_1)
	v_rcp_f32_e32 v3, v3
	s_waitcnt_depctr 0xfff
	v_mul_f32_e32 v3, 0x5f7ffffc, v3
	v_mul_f32_e32 v14, 0x2f800000, v3
	s_delay_alu instid0(VALU_DEP_1) | instskip(NEXT) | instid1(VALU_DEP_1)
	v_trunc_f32_e32 v14, v14
	v_fmac_f32_e32 v3, 0xcf800000, v14
	v_cvt_u32_f32_e32 v14, v14
	s_delay_alu instid0(VALU_DEP_2) | instskip(NEXT) | instid1(VALU_DEP_2)
	v_cvt_u32_f32_e32 v3, v3
	v_mul_lo_u32 v15, s0, v14
	s_delay_alu instid0(VALU_DEP_2) | instskip(SKIP_1) | instid1(VALU_DEP_2)
	v_mul_hi_u32 v17, s0, v3
	v_mul_lo_u32 v18, s7, v3
	v_add_nc_u32_e32 v15, v17, v15
	v_mul_lo_u32 v17, s0, v3
	s_delay_alu instid0(VALU_DEP_2) | instskip(NEXT) | instid1(VALU_DEP_2)
	v_add_nc_u32_e32 v15, v15, v18
	v_mul_hi_u32 v18, v3, v17
	s_delay_alu instid0(VALU_DEP_2)
	v_mul_lo_u32 v19, v3, v15
	v_mul_hi_u32 v20, v3, v15
	v_mul_hi_u32 v21, v14, v17
	v_mul_lo_u32 v17, v14, v17
	v_mul_hi_u32 v22, v14, v15
	v_mul_lo_u32 v15, v14, v15
	v_add_co_u32 v18, vcc_lo, v18, v19
	v_add_co_ci_u32_e32 v19, vcc_lo, 0, v20, vcc_lo
	s_delay_alu instid0(VALU_DEP_2) | instskip(NEXT) | instid1(VALU_DEP_2)
	v_add_co_u32 v17, vcc_lo, v18, v17
	v_add_co_ci_u32_e32 v17, vcc_lo, v19, v21, vcc_lo
	v_add_co_ci_u32_e32 v18, vcc_lo, 0, v22, vcc_lo
	v_ashrrev_i32_e32 v21, 31, v13
	s_delay_alu instid0(VALU_DEP_3) | instskip(NEXT) | instid1(VALU_DEP_3)
	v_add_co_u32 v15, vcc_lo, v17, v15
	v_add_co_ci_u32_e32 v17, vcc_lo, 0, v18, vcc_lo
	s_delay_alu instid0(VALU_DEP_2) | instskip(NEXT) | instid1(VALU_DEP_2)
	v_add_co_u32 v3, vcc_lo, v3, v15
	v_add_co_ci_u32_e32 v14, vcc_lo, v14, v17, vcc_lo
	s_delay_alu instid0(VALU_DEP_2) | instskip(SKIP_1) | instid1(VALU_DEP_3)
	v_mul_hi_u32 v15, s0, v3
	v_mul_lo_u32 v18, s7, v3
	v_mul_lo_u32 v17, s0, v14
	s_delay_alu instid0(VALU_DEP_1) | instskip(SKIP_1) | instid1(VALU_DEP_2)
	v_add_nc_u32_e32 v15, v15, v17
	v_mul_lo_u32 v17, s0, v3
	v_add_nc_u32_e32 v15, v15, v18
	s_delay_alu instid0(VALU_DEP_2) | instskip(NEXT) | instid1(VALU_DEP_2)
	v_mul_hi_u32 v18, v3, v17
	v_mul_lo_u32 v19, v3, v15
	v_mul_hi_u32 v20, v3, v15
	v_mul_hi_u32 v22, v14, v17
	v_mul_lo_u32 v17, v14, v17
	v_mul_hi_u32 v23, v14, v15
	v_mul_lo_u32 v15, v14, v15
	v_add_co_u32 v18, vcc_lo, v18, v19
	v_add_co_ci_u32_e32 v19, vcc_lo, 0, v20, vcc_lo
	s_delay_alu instid0(VALU_DEP_2) | instskip(NEXT) | instid1(VALU_DEP_2)
	v_add_co_u32 v17, vcc_lo, v18, v17
	v_add_co_ci_u32_e32 v17, vcc_lo, v19, v22, vcc_lo
	v_add_co_ci_u32_e32 v18, vcc_lo, 0, v23, vcc_lo
	v_add_co_u32 v19, vcc_lo, v12, v21
	v_add_co_ci_u32_e32 v13, vcc_lo, v13, v21, vcc_lo
	s_delay_alu instid0(VALU_DEP_4) | instskip(NEXT) | instid1(VALU_DEP_4)
	v_add_co_u32 v15, vcc_lo, v17, v15
	v_add_co_ci_u32_e32 v17, vcc_lo, 0, v18, vcc_lo
	s_delay_alu instid0(VALU_DEP_4) | instskip(NEXT) | instid1(VALU_DEP_3)
	v_xor_b32_e32 v22, v19, v21
	v_add_co_u32 v3, vcc_lo, v3, v15
	s_delay_alu instid0(VALU_DEP_3) | instskip(SKIP_1) | instid1(VALU_DEP_3)
	v_add_co_ci_u32_e32 v15, vcc_lo, v14, v17, vcc_lo
	v_xor_b32_e32 v23, v13, v21
	v_mul_hi_u32 v24, v22, v3
	s_delay_alu instid0(VALU_DEP_3) | instskip(NEXT) | instid1(VALU_DEP_3)
	v_mad_u64_u32 v[13:14], null, v22, v15, 0
	v_mad_u64_u32 v[17:18], null, v23, v3, 0
	;; [unrolled: 1-line block ×3, first 2 shown]
	s_delay_alu instid0(VALU_DEP_3) | instskip(NEXT) | instid1(VALU_DEP_4)
	v_add_co_u32 v3, vcc_lo, v24, v13
	v_add_co_ci_u32_e32 v13, vcc_lo, 0, v14, vcc_lo
	s_delay_alu instid0(VALU_DEP_2) | instskip(NEXT) | instid1(VALU_DEP_2)
	v_add_co_u32 v3, vcc_lo, v3, v17
	v_add_co_ci_u32_e32 v3, vcc_lo, v13, v18, vcc_lo
	v_add_co_ci_u32_e32 v13, vcc_lo, 0, v20, vcc_lo
	s_delay_alu instid0(VALU_DEP_2) | instskip(NEXT) | instid1(VALU_DEP_2)
	v_add_co_u32 v3, vcc_lo, v3, v19
	v_add_co_ci_u32_e32 v15, vcc_lo, 0, v13, vcc_lo
	s_delay_alu instid0(VALU_DEP_2) | instskip(SKIP_1) | instid1(VALU_DEP_3)
	v_mul_lo_u32 v17, s11, v3
	v_mad_u64_u32 v[13:14], null, s10, v3, 0
	v_mul_lo_u32 v15, s10, v15
	s_delay_alu instid0(VALU_DEP_2) | instskip(NEXT) | instid1(VALU_DEP_2)
	v_sub_co_u32 v13, vcc_lo, v22, v13
	v_add3_u32 v14, v14, v15, v17
	v_add_co_u32 v17, s0, v3, 2
	s_delay_alu instid0(VALU_DEP_2) | instskip(NEXT) | instid1(VALU_DEP_1)
	v_sub_nc_u32_e32 v15, v23, v14
	v_subrev_co_ci_u32_e64 v15, s0, s11, v15, vcc_lo
	v_sub_co_u32 v18, s0, v13, s10
	v_sub_co_ci_u32_e32 v14, vcc_lo, v23, v14, vcc_lo
	s_delay_alu instid0(VALU_DEP_3) | instskip(NEXT) | instid1(VALU_DEP_3)
	v_subrev_co_ci_u32_e64 v15, s0, 0, v15, s0
	v_cmp_le_u32_e32 vcc_lo, s10, v18
	v_cndmask_b32_e64 v18, 0, -1, vcc_lo
	s_delay_alu instid0(VALU_DEP_3)
	v_cmp_le_u32_e32 vcc_lo, s11, v15
	v_cndmask_b32_e64 v19, 0, -1, vcc_lo
	v_cmp_le_u32_e32 vcc_lo, s10, v13
	v_cndmask_b32_e64 v13, 0, -1, vcc_lo
	;; [unrolled: 2-line block ×3, first 2 shown]
	v_cmp_eq_u32_e32 vcc_lo, s11, v15
	v_cndmask_b32_e32 v15, v19, v18, vcc_lo
	v_add_co_u32 v18, vcc_lo, v3, 1
	v_cmp_eq_u32_e32 vcc_lo, s11, v14
	v_cndmask_b32_e32 v13, v20, v13, vcc_lo
	s_delay_alu instid0(VALU_DEP_4) | instskip(NEXT) | instid1(VALU_DEP_4)
	v_cmp_ne_u32_e32 vcc_lo, 0, v15
	v_cndmask_b32_e32 v14, v18, v17, vcc_lo
	s_delay_alu instid0(VALU_DEP_3) | instskip(SKIP_1) | instid1(VALU_DEP_3)
	v_cmp_ne_u32_e32 vcc_lo, 0, v13
	v_xor_b32_e32 v13, s8, v21
	v_cndmask_b32_e32 v3, v3, v14, vcc_lo
	s_delay_alu instid0(VALU_DEP_1) | instskip(NEXT) | instid1(VALU_DEP_1)
	v_xor_b32_e32 v3, v3, v13
	v_sub_co_u32 v14, vcc_lo, v3, v13
.LBB3_15:                               ;   in Loop: Header=BB3_4 Depth=1
	s_and_not1_saveexec_b32 s0, s5
	s_cbranch_execz .LBB3_2
; %bb.16:                               ;   in Loop: Header=BB3_4 Depth=1
	v_cvt_f32_u32_e32 v3, s22
	s_sub_i32 s5, 0, s22
	s_delay_alu instid0(VALU_DEP_1) | instskip(SKIP_2) | instid1(VALU_DEP_1)
	v_rcp_iflag_f32_e32 v3, v3
	s_waitcnt_depctr 0xfff
	v_mul_f32_e32 v3, 0x4f7ffffe, v3
	v_cvt_u32_f32_e32 v3, v3
	s_delay_alu instid0(VALU_DEP_1) | instskip(NEXT) | instid1(VALU_DEP_1)
	v_mul_lo_u32 v13, s5, v3
	v_mul_hi_u32 v13, v3, v13
	s_delay_alu instid0(VALU_DEP_1) | instskip(NEXT) | instid1(VALU_DEP_1)
	v_add_nc_u32_e32 v3, v3, v13
	v_mul_hi_u32 v3, v12, v3
	s_delay_alu instid0(VALU_DEP_1) | instskip(SKIP_1) | instid1(VALU_DEP_2)
	v_mul_lo_u32 v13, v3, s22
	v_add_nc_u32_e32 v14, 1, v3
	v_sub_nc_u32_e32 v13, v12, v13
	s_delay_alu instid0(VALU_DEP_1) | instskip(SKIP_1) | instid1(VALU_DEP_4)
	v_cmp_le_u32_e32 vcc_lo, s22, v13
	v_subrev_nc_u32_e32 v15, s22, v13
	v_cndmask_b32_e32 v3, v3, v14, vcc_lo
	s_delay_alu instid0(VALU_DEP_1) | instskip(NEXT) | instid1(VALU_DEP_3)
	v_add_nc_u32_e32 v14, 1, v3
	v_cndmask_b32_e32 v13, v13, v15, vcc_lo
	s_delay_alu instid0(VALU_DEP_1) | instskip(NEXT) | instid1(VALU_DEP_3)
	v_cmp_le_u32_e32 vcc_lo, s22, v13
	v_cndmask_b32_e32 v14, v3, v14, vcc_lo
	s_branch .LBB3_2
.LBB3_17:
	s_or_b32 exec_lo, exec_lo, s1
	s_and_saveexec_b32 s0, s14
	s_delay_alu instid0(SALU_CYCLE_1)
	s_xor_b32 s0, exec_lo, s0
	s_cbranch_execnz .LBB3_19
.LBB3_18:
	s_nop 0
	s_sendmsg sendmsg(MSG_DEALLOC_VGPRS)
	s_endpgm
.LBB3_19:
	s_cbranch_execnz .LBB3_21
; %bb.20:
	; divergent unreachable
	s_nop 0
	s_sendmsg sendmsg(MSG_DEALLOC_VGPRS)
	s_endpgm
.LBB3_21:
	s_trap 2
	s_sendmsg_rtn_b32 s0, sendmsg(MSG_RTN_GET_DOORBELL)
	s_mov_b32 ttmp2, m0
	s_waitcnt lgkmcnt(0)
	s_and_b32 s0, s0, 0x3ff
	s_delay_alu instid0(SALU_CYCLE_1) | instskip(NEXT) | instid1(SALU_CYCLE_1)
	s_bitset1_b32 s0, 10
	s_mov_b32 m0, s0
	s_sendmsg sendmsg(MSG_INTERRUPT)
	s_mov_b32 m0, ttmp2
.LBB3_22:                               ; =>This Inner Loop Header: Depth=1
	s_sethalt 5
	s_branch .LBB3_22
	.section	.rodata,"a",@progbits
	.p2align	6, 0x0
	.amdhsa_kernel _ZN2at6native30max_unpooling2d_forward_kernelIlEEvlPKT_PKllllllPS2_
		.amdhsa_group_segment_fixed_size 0
		.amdhsa_private_segment_fixed_size 0
		.amdhsa_kernarg_size 328
		.amdhsa_user_sgpr_count 15
		.amdhsa_user_sgpr_dispatch_ptr 0
		.amdhsa_user_sgpr_queue_ptr 0
		.amdhsa_user_sgpr_kernarg_segment_ptr 1
		.amdhsa_user_sgpr_dispatch_id 0
		.amdhsa_user_sgpr_private_segment_size 0
		.amdhsa_wavefront_size32 1
		.amdhsa_uses_dynamic_stack 0
		.amdhsa_enable_private_segment 0
		.amdhsa_system_sgpr_workgroup_id_x 1
		.amdhsa_system_sgpr_workgroup_id_y 0
		.amdhsa_system_sgpr_workgroup_id_z 0
		.amdhsa_system_sgpr_workgroup_info 0
		.amdhsa_system_vgpr_workitem_id 0
		.amdhsa_next_free_vgpr 25
		.amdhsa_next_free_sgpr 32
		.amdhsa_reserve_vcc 1
		.amdhsa_float_round_mode_32 0
		.amdhsa_float_round_mode_16_64 0
		.amdhsa_float_denorm_mode_32 3
		.amdhsa_float_denorm_mode_16_64 3
		.amdhsa_dx10_clamp 1
		.amdhsa_ieee_mode 1
		.amdhsa_fp16_overflow 0
		.amdhsa_workgroup_processor_mode 1
		.amdhsa_memory_ordered 1
		.amdhsa_forward_progress 0
		.amdhsa_shared_vgpr_count 0
		.amdhsa_exception_fp_ieee_invalid_op 0
		.amdhsa_exception_fp_denorm_src 0
		.amdhsa_exception_fp_ieee_div_zero 0
		.amdhsa_exception_fp_ieee_overflow 0
		.amdhsa_exception_fp_ieee_underflow 0
		.amdhsa_exception_fp_ieee_inexact 0
		.amdhsa_exception_int_div_zero 0
	.end_amdhsa_kernel
	.section	.text._ZN2at6native30max_unpooling2d_forward_kernelIlEEvlPKT_PKllllllPS2_,"axG",@progbits,_ZN2at6native30max_unpooling2d_forward_kernelIlEEvlPKT_PKllllllPS2_,comdat
.Lfunc_end3:
	.size	_ZN2at6native30max_unpooling2d_forward_kernelIlEEvlPKT_PKllllllPS2_, .Lfunc_end3-_ZN2at6native30max_unpooling2d_forward_kernelIlEEvlPKT_PKllllllPS2_
                                        ; -- End function
	.section	.AMDGPU.csdata,"",@progbits
; Kernel info:
; codeLenInByte = 3568
; NumSgprs: 34
; NumVgprs: 25
; ScratchSize: 0
; MemoryBound: 0
; FloatMode: 240
; IeeeMode: 1
; LDSByteSize: 0 bytes/workgroup (compile time only)
; SGPRBlocks: 4
; VGPRBlocks: 3
; NumSGPRsForWavesPerEU: 34
; NumVGPRsForWavesPerEU: 25
; Occupancy: 16
; WaveLimiterHint : 1
; COMPUTE_PGM_RSRC2:SCRATCH_EN: 0
; COMPUTE_PGM_RSRC2:USER_SGPR: 15
; COMPUTE_PGM_RSRC2:TRAP_HANDLER: 0
; COMPUTE_PGM_RSRC2:TGID_X_EN: 1
; COMPUTE_PGM_RSRC2:TGID_Y_EN: 0
; COMPUTE_PGM_RSRC2:TGID_Z_EN: 0
; COMPUTE_PGM_RSRC2:TIDIG_COMP_CNT: 0
	.section	.text._ZN2at6native30max_unpooling2d_forward_kernelIsEEvlPKT_PKllllllPS2_,"axG",@progbits,_ZN2at6native30max_unpooling2d_forward_kernelIsEEvlPKT_PKllllllPS2_,comdat
	.protected	_ZN2at6native30max_unpooling2d_forward_kernelIsEEvlPKT_PKllllllPS2_ ; -- Begin function _ZN2at6native30max_unpooling2d_forward_kernelIsEEvlPKT_PKllllllPS2_
	.globl	_ZN2at6native30max_unpooling2d_forward_kernelIsEEvlPKT_PKllllllPS2_
	.p2align	8
	.type	_ZN2at6native30max_unpooling2d_forward_kernelIsEEvlPKT_PKllllllPS2_,@function
_ZN2at6native30max_unpooling2d_forward_kernelIsEEvlPKT_PKllllllPS2_: ; @_ZN2at6native30max_unpooling2d_forward_kernelIsEEvlPKT_PKllllllPS2_
; %bb.0:
	s_clause 0x1
	s_load_b32 s4, s[0:1], 0x54
	s_load_b512 s[16:31], s[0:1], 0x0
	v_mov_b32_e32 v2, 0
	s_add_u32 s2, s0, 0x48
	s_addc_u32 s3, s1, 0
	s_mov_b32 s5, exec_lo
	s_delay_alu instid0(VALU_DEP_1)
	v_mov_b32_e32 v1, v2
	s_waitcnt lgkmcnt(0)
	s_and_b32 s4, s4, 0xffff
	s_delay_alu instid0(VALU_DEP_1) | instid1(SALU_CYCLE_1)
	v_mad_u64_u32 v[4:5], null, s4, s15, v[0:1]
	s_delay_alu instid0(VALU_DEP_1)
	v_cmpx_gt_i64_e64 s[16:17], v[4:5]
	s_cbranch_execz .LBB4_18
; %bb.1:
	v_cvt_f32_u32_e32 v0, s26
	s_load_b64 s[6:7], s[0:1], 0x40
	s_load_b32 s5, s[2:3], 0x0
	s_sub_i32 s0, 0, s26
	s_mul_hi_u32 s3, s30, s28
	v_rcp_iflag_f32_e32 v0, v0
	s_mul_i32 s8, s31, s28
	s_mul_i32 s2, s30, s28
	s_mov_b32 s1, 0
                                        ; implicit-def: $sgpr14
                                        ; implicit-def: $sgpr28
                                        ; implicit-def: $sgpr15
	s_waitcnt_depctr 0xfff
	v_dual_mov_b32 v3, v4 :: v_dual_mul_f32 v0, 0x4f7ffffe, v0
	s_delay_alu instid0(VALU_DEP_1)
	v_cvt_u32_f32_e32 v6, v0
	s_waitcnt lgkmcnt(0)
	s_mul_i32 s12, s5, s4
	s_ashr_i32 s4, s27, 31
	s_mov_b32 s13, s12
	v_mul_lo_u32 v0, s0, v6
	s_mul_i32 s0, s30, s29
	s_delay_alu instid0(SALU_CYCLE_1) | instskip(NEXT) | instid1(SALU_CYCLE_1)
	s_add_i32 s0, s3, s0
	s_add_i32 s3, s0, s8
	s_delay_alu instid0(VALU_DEP_1) | instskip(SKIP_2) | instid1(VALU_DEP_2)
	v_mul_hi_u32 v7, v6, v0
	v_dual_mov_b32 v0, s6 :: v_dual_mov_b32 v1, s7
	s_ashr_i32 s6, s25, 31
	v_dual_mov_b32 v7, v3 :: v_dual_add_nc_u32 v16, v6, v7
	v_mov_b32_e32 v6, v2
	s_branch .LBB4_4
.LBB4_2:                                ;   in Loop: Header=BB4_4 Depth=1
	s_or_b32 exec_lo, exec_lo, s0
	v_lshlrev_b64 v[10:11], 1, v[10:11]
	s_delay_alu instid0(VALU_DEP_2) | instskip(SKIP_2) | instid1(VALU_DEP_1)
	v_ashrrev_i32_e32 v15, 31, v14
	v_lshlrev_b64 v[8:9], 1, v[8:9]
	v_add_co_u32 v6, s0, v6, 0
	v_add_co_ci_u32_e64 v7, s0, s13, v7, s0
	v_add_co_u32 v10, vcc_lo, s18, v10
	v_add_co_ci_u32_e32 v11, vcc_lo, s19, v11, vcc_lo
	s_and_not1_b32 s0, s28, exec_lo
	s_and_not1_b32 s15, s15, exec_lo
	global_load_u16 v3, v[10:11], off
	v_mul_lo_u32 v10, v14, s22
	s_delay_alu instid0(VALU_DEP_1) | instskip(NEXT) | instid1(VALU_DEP_1)
	v_sub_nc_u32_e32 v10, v12, v10
	v_ashrrev_i32_e32 v11, 31, v10
	s_delay_alu instid0(VALU_DEP_1) | instskip(SKIP_2) | instid1(VALU_DEP_1)
	v_mad_u64_u32 v[12:13], null, v14, s22, v[10:11]
	v_mul_lo_u32 v10, v14, s23
	v_mul_lo_u32 v11, v15, s22
	v_add3_u32 v10, v11, v13, v10
	s_delay_alu instid0(VALU_DEP_4) | instskip(NEXT) | instid1(VALU_DEP_2)
	v_mul_lo_u32 v13, s3, v12
	v_mul_lo_u32 v14, s2, v10
	v_mad_u64_u32 v[10:11], null, s2, v12, 0
	s_delay_alu instid0(VALU_DEP_1) | instskip(NEXT) | instid1(VALU_DEP_1)
	v_add3_u32 v11, v11, v14, v13
	v_lshlrev_b64 v[10:11], 1, v[10:11]
	s_delay_alu instid0(VALU_DEP_1) | instskip(NEXT) | instid1(VALU_DEP_2)
	v_add_co_u32 v0, vcc_lo, v0, v10
	v_add_co_ci_u32_e32 v1, vcc_lo, v1, v11, vcc_lo
	v_add_co_u32 v4, vcc_lo, v4, s12
	v_add_co_ci_u32_e32 v5, vcc_lo, 0, v5, vcc_lo
	s_delay_alu instid0(VALU_DEP_4) | instskip(NEXT) | instid1(VALU_DEP_4)
	v_add_co_u32 v8, vcc_lo, v0, v8
	v_add_co_ci_u32_e32 v9, vcc_lo, v1, v9, vcc_lo
	s_delay_alu instid0(VALU_DEP_3) | instskip(SKIP_1) | instid1(SALU_CYCLE_1)
	v_cmp_le_i64_e32 vcc_lo, s[16:17], v[4:5]
	s_and_b32 s5, vcc_lo, exec_lo
	s_or_b32 s28, s0, s5
	s_waitcnt vmcnt(0)
	global_store_b16 v[8:9], v3, off
.LBB4_3:                                ;   in Loop: Header=BB4_4 Depth=1
	s_or_b32 exec_lo, exec_lo, s29
	s_delay_alu instid0(SALU_CYCLE_1) | instskip(NEXT) | instid1(SALU_CYCLE_1)
	s_and_b32 s0, exec_lo, s28
	s_or_b32 s1, s0, s1
	s_and_not1_b32 s0, s14, exec_lo
	s_and_b32 s5, s15, exec_lo
	s_delay_alu instid0(SALU_CYCLE_1)
	s_or_b32 s14, s0, s5
	s_and_not1_b32 exec_lo, exec_lo, s1
	s_cbranch_execz .LBB4_17
.LBB4_4:                                ; =>This Inner Loop Header: Depth=1
	s_delay_alu instid0(VALU_DEP_1) | instskip(SKIP_2) | instid1(VALU_DEP_1)
	v_ashrrev_i64 v[8:9], 29, v[6:7]
	s_or_b32 s15, s15, exec_lo
	s_or_b32 s28, s28, exec_lo
	v_add_co_u32 v8, vcc_lo, s20, v8
	s_delay_alu instid0(VALU_DEP_2) | instskip(SKIP_4) | instid1(VALU_DEP_2)
	v_add_co_ci_u32_e32 v9, vcc_lo, s21, v9, vcc_lo
	global_load_b64 v[8:9], v[8:9], off
	s_waitcnt vmcnt(0)
	v_ashrrev_i32_e32 v9, 31, v8
	v_cmp_lt_i32_e64 s0, -1, v8
	v_cmp_gt_i64_e32 vcc_lo, s[2:3], v[8:9]
	s_delay_alu instid0(VALU_DEP_2) | instskip(NEXT) | instid1(SALU_CYCLE_1)
	s_and_b32 s0, s0, vcc_lo
	s_and_saveexec_b32 s29, s0
	s_cbranch_execz .LBB4_3
; %bb.5:                                ;   in Loop: Header=BB4_4 Depth=1
	v_ashrrev_i32_e32 v11, 31, v7
	v_mov_b32_e32 v10, v7
                                        ; implicit-def: $vgpr14_vgpr15
	s_mov_b32 s0, exec_lo
	s_delay_alu instid0(VALU_DEP_2) | instskip(NEXT) | instid1(VALU_DEP_1)
	v_or_b32_e32 v3, s27, v11
	v_cmpx_ne_u64_e32 0, v[2:3]
	s_xor_b32 s7, exec_lo, s0
	s_cbranch_execz .LBB4_7
; %bb.6:                                ;   in Loop: Header=BB4_4 Depth=1
	s_add_u32 s8, s26, s4
	s_mov_b32 s5, s4
	s_addc_u32 s9, s27, s4
	s_delay_alu instid0(SALU_CYCLE_1) | instskip(NEXT) | instid1(SALU_CYCLE_1)
	s_xor_b64 s[8:9], s[8:9], s[4:5]
	v_cvt_f32_u32_e32 v3, s8
	v_cvt_f32_u32_e32 v12, s9
	s_sub_u32 s0, 0, s8
	s_subb_u32 s5, 0, s9
	s_delay_alu instid0(VALU_DEP_1) | instskip(NEXT) | instid1(VALU_DEP_1)
	v_fmac_f32_e32 v3, 0x4f800000, v12
	v_rcp_f32_e32 v3, v3
	s_waitcnt_depctr 0xfff
	v_mul_f32_e32 v3, 0x5f7ffffc, v3
	s_delay_alu instid0(VALU_DEP_1) | instskip(NEXT) | instid1(VALU_DEP_1)
	v_mul_f32_e32 v12, 0x2f800000, v3
	v_trunc_f32_e32 v12, v12
	s_delay_alu instid0(VALU_DEP_1) | instskip(SKIP_1) | instid1(VALU_DEP_2)
	v_fmac_f32_e32 v3, 0xcf800000, v12
	v_cvt_u32_f32_e32 v12, v12
	v_cvt_u32_f32_e32 v3, v3
	s_delay_alu instid0(VALU_DEP_2) | instskip(NEXT) | instid1(VALU_DEP_2)
	v_mul_lo_u32 v13, s0, v12
	v_mul_hi_u32 v14, s0, v3
	v_mul_lo_u32 v15, s5, v3
	s_delay_alu instid0(VALU_DEP_2) | instskip(SKIP_1) | instid1(VALU_DEP_2)
	v_add_nc_u32_e32 v13, v14, v13
	v_mul_lo_u32 v14, s0, v3
	v_add_nc_u32_e32 v13, v13, v15
	s_delay_alu instid0(VALU_DEP_2) | instskip(NEXT) | instid1(VALU_DEP_2)
	v_mul_hi_u32 v15, v3, v14
	v_mul_lo_u32 v17, v3, v13
	v_mul_hi_u32 v18, v3, v13
	v_mul_hi_u32 v19, v12, v14
	v_mul_lo_u32 v14, v12, v14
	v_mul_hi_u32 v20, v12, v13
	v_mul_lo_u32 v13, v12, v13
	v_add_co_u32 v15, vcc_lo, v15, v17
	v_add_co_ci_u32_e32 v17, vcc_lo, 0, v18, vcc_lo
	s_delay_alu instid0(VALU_DEP_2) | instskip(NEXT) | instid1(VALU_DEP_2)
	v_add_co_u32 v14, vcc_lo, v15, v14
	v_add_co_ci_u32_e32 v14, vcc_lo, v17, v19, vcc_lo
	v_add_co_ci_u32_e32 v15, vcc_lo, 0, v20, vcc_lo
	v_ashrrev_i32_e32 v19, 31, v11
	s_delay_alu instid0(VALU_DEP_3) | instskip(NEXT) | instid1(VALU_DEP_3)
	v_add_co_u32 v13, vcc_lo, v14, v13
	v_add_co_ci_u32_e32 v14, vcc_lo, 0, v15, vcc_lo
	s_delay_alu instid0(VALU_DEP_2) | instskip(NEXT) | instid1(VALU_DEP_2)
	v_add_co_u32 v3, vcc_lo, v3, v13
	v_add_co_ci_u32_e32 v12, vcc_lo, v12, v14, vcc_lo
	s_delay_alu instid0(VALU_DEP_2) | instskip(SKIP_1) | instid1(VALU_DEP_3)
	v_mul_hi_u32 v13, s0, v3
	v_mul_lo_u32 v15, s5, v3
	v_mul_lo_u32 v14, s0, v12
	s_delay_alu instid0(VALU_DEP_1) | instskip(SKIP_1) | instid1(VALU_DEP_2)
	v_add_nc_u32_e32 v13, v13, v14
	v_mul_lo_u32 v14, s0, v3
	v_add_nc_u32_e32 v13, v13, v15
	s_delay_alu instid0(VALU_DEP_2) | instskip(NEXT) | instid1(VALU_DEP_2)
	v_mul_hi_u32 v15, v3, v14
	v_mul_lo_u32 v17, v3, v13
	v_mul_hi_u32 v18, v3, v13
	v_mul_hi_u32 v20, v12, v14
	v_mul_lo_u32 v14, v12, v14
	v_mul_hi_u32 v21, v12, v13
	v_mul_lo_u32 v13, v12, v13
	v_add_co_u32 v15, vcc_lo, v15, v17
	v_add_co_ci_u32_e32 v17, vcc_lo, 0, v18, vcc_lo
	s_delay_alu instid0(VALU_DEP_2) | instskip(NEXT) | instid1(VALU_DEP_2)
	v_add_co_u32 v14, vcc_lo, v15, v14
	v_add_co_ci_u32_e32 v14, vcc_lo, v17, v20, vcc_lo
	v_add_co_ci_u32_e32 v15, vcc_lo, 0, v21, vcc_lo
	v_add_co_u32 v17, vcc_lo, v10, v19
	v_add_co_ci_u32_e32 v18, vcc_lo, v11, v19, vcc_lo
	s_delay_alu instid0(VALU_DEP_4) | instskip(NEXT) | instid1(VALU_DEP_4)
	v_add_co_u32 v13, vcc_lo, v14, v13
	v_add_co_ci_u32_e32 v14, vcc_lo, 0, v15, vcc_lo
	s_delay_alu instid0(VALU_DEP_4) | instskip(NEXT) | instid1(VALU_DEP_3)
	v_xor_b32_e32 v20, v17, v19
	v_add_co_u32 v3, vcc_lo, v3, v13
	s_delay_alu instid0(VALU_DEP_3) | instskip(SKIP_1) | instid1(VALU_DEP_3)
	v_add_co_ci_u32_e32 v21, vcc_lo, v12, v14, vcc_lo
	v_xor_b32_e32 v22, v18, v19
	v_mul_hi_u32 v23, v20, v3
	s_delay_alu instid0(VALU_DEP_3) | instskip(NEXT) | instid1(VALU_DEP_3)
	v_mad_u64_u32 v[12:13], null, v20, v21, 0
	v_mad_u64_u32 v[14:15], null, v22, v3, 0
	;; [unrolled: 1-line block ×3, first 2 shown]
	s_delay_alu instid0(VALU_DEP_3) | instskip(NEXT) | instid1(VALU_DEP_4)
	v_add_co_u32 v3, vcc_lo, v23, v12
	v_add_co_ci_u32_e32 v12, vcc_lo, 0, v13, vcc_lo
	s_delay_alu instid0(VALU_DEP_2) | instskip(NEXT) | instid1(VALU_DEP_2)
	v_add_co_u32 v3, vcc_lo, v3, v14
	v_add_co_ci_u32_e32 v3, vcc_lo, v12, v15, vcc_lo
	v_add_co_ci_u32_e32 v12, vcc_lo, 0, v18, vcc_lo
	s_delay_alu instid0(VALU_DEP_2) | instskip(NEXT) | instid1(VALU_DEP_2)
	v_add_co_u32 v3, vcc_lo, v3, v17
	v_add_co_ci_u32_e32 v14, vcc_lo, 0, v12, vcc_lo
	s_delay_alu instid0(VALU_DEP_2) | instskip(SKIP_1) | instid1(VALU_DEP_3)
	v_mul_lo_u32 v15, s9, v3
	v_mad_u64_u32 v[12:13], null, s8, v3, 0
	v_mul_lo_u32 v17, s8, v14
	s_delay_alu instid0(VALU_DEP_2) | instskip(NEXT) | instid1(VALU_DEP_2)
	v_sub_co_u32 v12, vcc_lo, v20, v12
	v_add3_u32 v13, v13, v17, v15
	s_delay_alu instid0(VALU_DEP_1) | instskip(NEXT) | instid1(VALU_DEP_1)
	v_sub_nc_u32_e32 v15, v22, v13
	v_subrev_co_ci_u32_e64 v15, s0, s9, v15, vcc_lo
	v_add_co_u32 v17, s0, v3, 2
	s_delay_alu instid0(VALU_DEP_1) | instskip(SKIP_3) | instid1(VALU_DEP_3)
	v_add_co_ci_u32_e64 v18, s0, 0, v14, s0
	v_sub_co_u32 v20, s0, v12, s8
	v_sub_co_ci_u32_e32 v13, vcc_lo, v22, v13, vcc_lo
	v_subrev_co_ci_u32_e64 v15, s0, 0, v15, s0
	v_cmp_le_u32_e32 vcc_lo, s8, v20
	s_delay_alu instid0(VALU_DEP_3) | instskip(SKIP_1) | instid1(VALU_DEP_4)
	v_cmp_eq_u32_e64 s0, s9, v13
	v_cndmask_b32_e64 v20, 0, -1, vcc_lo
	v_cmp_le_u32_e32 vcc_lo, s9, v15
	v_cndmask_b32_e64 v21, 0, -1, vcc_lo
	v_cmp_le_u32_e32 vcc_lo, s8, v12
	;; [unrolled: 2-line block ×3, first 2 shown]
	v_cndmask_b32_e64 v22, 0, -1, vcc_lo
	v_cmp_eq_u32_e32 vcc_lo, s9, v15
	s_delay_alu instid0(VALU_DEP_2) | instskip(SKIP_3) | instid1(VALU_DEP_3)
	v_cndmask_b32_e64 v12, v22, v12, s0
	v_cndmask_b32_e32 v15, v21, v20, vcc_lo
	v_add_co_u32 v20, vcc_lo, v3, 1
	v_add_co_ci_u32_e32 v21, vcc_lo, 0, v14, vcc_lo
	v_cmp_ne_u32_e32 vcc_lo, 0, v15
	s_delay_alu instid0(VALU_DEP_2) | instskip(NEXT) | instid1(VALU_DEP_4)
	v_cndmask_b32_e32 v13, v21, v18, vcc_lo
	v_cndmask_b32_e32 v15, v20, v17, vcc_lo
	v_cmp_ne_u32_e32 vcc_lo, 0, v12
	v_xor_b32_e32 v12, s4, v19
	s_delay_alu instid0(VALU_DEP_3) | instskip(SKIP_1) | instid1(VALU_DEP_2)
	v_cndmask_b32_e32 v3, v3, v15, vcc_lo
	v_cndmask_b32_e32 v13, v14, v13, vcc_lo
	v_xor_b32_e32 v3, v3, v12
	s_delay_alu instid0(VALU_DEP_2) | instskip(NEXT) | instid1(VALU_DEP_2)
	v_xor_b32_e32 v13, v13, v12
	v_sub_co_u32 v14, vcc_lo, v3, v12
	s_delay_alu instid0(VALU_DEP_2)
	v_sub_co_ci_u32_e32 v15, vcc_lo, v13, v12, vcc_lo
.LBB4_7:                                ;   in Loop: Header=BB4_4 Depth=1
	s_and_not1_saveexec_b32 s0, s7
; %bb.8:                                ;   in Loop: Header=BB4_4 Depth=1
	v_mul_hi_u32 v3, v7, v16
	v_mov_b32_e32 v15, v2
	s_delay_alu instid0(VALU_DEP_2) | instskip(NEXT) | instid1(VALU_DEP_1)
	v_mul_lo_u32 v12, v3, s26
	v_sub_nc_u32_e32 v12, v7, v12
	s_delay_alu instid0(VALU_DEP_1) | instskip(SKIP_1) | instid1(VALU_DEP_2)
	v_subrev_nc_u32_e32 v14, s26, v12
	v_cmp_le_u32_e32 vcc_lo, s26, v12
	v_dual_cndmask_b32 v12, v12, v14 :: v_dual_add_nc_u32 v13, 1, v3
	s_delay_alu instid0(VALU_DEP_1) | instskip(NEXT) | instid1(VALU_DEP_2)
	v_cndmask_b32_e32 v3, v3, v13, vcc_lo
	v_cmp_le_u32_e32 vcc_lo, s26, v12
	s_delay_alu instid0(VALU_DEP_2) | instskip(NEXT) | instid1(VALU_DEP_1)
	v_add_nc_u32_e32 v13, 1, v3
	v_cndmask_b32_e32 v14, v3, v13, vcc_lo
; %bb.9:                                ;   in Loop: Header=BB4_4 Depth=1
	s_or_b32 exec_lo, exec_lo, s0
	v_or_b32_e32 v3, s25, v15
                                        ; implicit-def: $vgpr12_vgpr13
	s_mov_b32 s0, exec_lo
	s_delay_alu instid0(VALU_DEP_1)
	v_cmpx_ne_u64_e32 0, v[2:3]
	s_xor_b32 s5, exec_lo, s0
	s_cbranch_execz .LBB4_11
; %bb.10:                               ;   in Loop: Header=BB4_4 Depth=1
	s_add_u32 s8, s24, s6
	s_mov_b32 s7, s6
	s_addc_u32 s9, s25, s6
	s_delay_alu instid0(SALU_CYCLE_1) | instskip(NEXT) | instid1(SALU_CYCLE_1)
	s_xor_b64 s[8:9], s[8:9], s[6:7]
	v_cvt_f32_u32_e32 v3, s8
	v_cvt_f32_u32_e32 v12, s9
	s_sub_u32 s0, 0, s8
	s_subb_u32 s7, 0, s9
	s_delay_alu instid0(VALU_DEP_1) | instskip(NEXT) | instid1(VALU_DEP_1)
	v_fmac_f32_e32 v3, 0x4f800000, v12
	v_rcp_f32_e32 v3, v3
	s_waitcnt_depctr 0xfff
	v_mul_f32_e32 v3, 0x5f7ffffc, v3
	s_delay_alu instid0(VALU_DEP_1) | instskip(NEXT) | instid1(VALU_DEP_1)
	v_mul_f32_e32 v12, 0x2f800000, v3
	v_trunc_f32_e32 v12, v12
	s_delay_alu instid0(VALU_DEP_1) | instskip(SKIP_1) | instid1(VALU_DEP_2)
	v_fmac_f32_e32 v3, 0xcf800000, v12
	v_cvt_u32_f32_e32 v12, v12
	v_cvt_u32_f32_e32 v3, v3
	s_delay_alu instid0(VALU_DEP_2) | instskip(NEXT) | instid1(VALU_DEP_2)
	v_mul_lo_u32 v13, s0, v12
	v_mul_hi_u32 v17, s0, v3
	v_mul_lo_u32 v18, s7, v3
	s_delay_alu instid0(VALU_DEP_2) | instskip(SKIP_1) | instid1(VALU_DEP_2)
	v_add_nc_u32_e32 v13, v17, v13
	v_mul_lo_u32 v17, s0, v3
	v_add_nc_u32_e32 v13, v13, v18
	s_delay_alu instid0(VALU_DEP_2) | instskip(NEXT) | instid1(VALU_DEP_2)
	v_mul_hi_u32 v18, v3, v17
	v_mul_lo_u32 v19, v3, v13
	v_mul_hi_u32 v20, v3, v13
	v_mul_hi_u32 v21, v12, v17
	v_mul_lo_u32 v17, v12, v17
	v_mul_hi_u32 v22, v12, v13
	v_mul_lo_u32 v13, v12, v13
	v_add_co_u32 v18, vcc_lo, v18, v19
	v_add_co_ci_u32_e32 v19, vcc_lo, 0, v20, vcc_lo
	s_delay_alu instid0(VALU_DEP_2) | instskip(NEXT) | instid1(VALU_DEP_2)
	v_add_co_u32 v17, vcc_lo, v18, v17
	v_add_co_ci_u32_e32 v17, vcc_lo, v19, v21, vcc_lo
	v_add_co_ci_u32_e32 v18, vcc_lo, 0, v22, vcc_lo
	v_ashrrev_i32_e32 v21, 31, v15
	s_delay_alu instid0(VALU_DEP_3) | instskip(NEXT) | instid1(VALU_DEP_3)
	v_add_co_u32 v13, vcc_lo, v17, v13
	v_add_co_ci_u32_e32 v17, vcc_lo, 0, v18, vcc_lo
	s_delay_alu instid0(VALU_DEP_2) | instskip(NEXT) | instid1(VALU_DEP_2)
	v_add_co_u32 v3, vcc_lo, v3, v13
	v_add_co_ci_u32_e32 v12, vcc_lo, v12, v17, vcc_lo
	s_delay_alu instid0(VALU_DEP_2) | instskip(SKIP_1) | instid1(VALU_DEP_3)
	v_mul_hi_u32 v13, s0, v3
	v_mul_lo_u32 v18, s7, v3
	v_mul_lo_u32 v17, s0, v12
	s_delay_alu instid0(VALU_DEP_1) | instskip(SKIP_1) | instid1(VALU_DEP_2)
	v_add_nc_u32_e32 v13, v13, v17
	v_mul_lo_u32 v17, s0, v3
	v_add_nc_u32_e32 v13, v13, v18
	s_delay_alu instid0(VALU_DEP_2) | instskip(NEXT) | instid1(VALU_DEP_2)
	v_mul_hi_u32 v18, v3, v17
	v_mul_lo_u32 v19, v3, v13
	v_mul_hi_u32 v20, v3, v13
	v_mul_hi_u32 v22, v12, v17
	v_mul_lo_u32 v17, v12, v17
	v_mul_hi_u32 v23, v12, v13
	v_mul_lo_u32 v13, v12, v13
	v_add_co_u32 v18, vcc_lo, v18, v19
	v_add_co_ci_u32_e32 v19, vcc_lo, 0, v20, vcc_lo
	s_delay_alu instid0(VALU_DEP_2) | instskip(NEXT) | instid1(VALU_DEP_2)
	v_add_co_u32 v17, vcc_lo, v18, v17
	v_add_co_ci_u32_e32 v17, vcc_lo, v19, v22, vcc_lo
	v_add_co_ci_u32_e32 v18, vcc_lo, 0, v23, vcc_lo
	v_add_co_u32 v14, vcc_lo, v14, v21
	v_add_co_ci_u32_e32 v15, vcc_lo, v15, v21, vcc_lo
	s_delay_alu instid0(VALU_DEP_4) | instskip(NEXT) | instid1(VALU_DEP_4)
	v_add_co_u32 v13, vcc_lo, v17, v13
	v_add_co_ci_u32_e32 v17, vcc_lo, 0, v18, vcc_lo
	s_delay_alu instid0(VALU_DEP_4) | instskip(NEXT) | instid1(VALU_DEP_3)
	v_xor_b32_e32 v19, v14, v21
	v_add_co_u32 v3, vcc_lo, v3, v13
	s_delay_alu instid0(VALU_DEP_3) | instskip(SKIP_1) | instid1(VALU_DEP_3)
	v_add_co_ci_u32_e32 v20, vcc_lo, v12, v17, vcc_lo
	v_xor_b32_e32 v22, v15, v21
	v_mul_hi_u32 v23, v19, v3
	s_delay_alu instid0(VALU_DEP_3) | instskip(NEXT) | instid1(VALU_DEP_3)
	v_mad_u64_u32 v[12:13], null, v19, v20, 0
	v_mad_u64_u32 v[14:15], null, v22, v3, 0
	;; [unrolled: 1-line block ×3, first 2 shown]
	s_delay_alu instid0(VALU_DEP_3) | instskip(NEXT) | instid1(VALU_DEP_4)
	v_add_co_u32 v3, vcc_lo, v23, v12
	v_add_co_ci_u32_e32 v12, vcc_lo, 0, v13, vcc_lo
	s_delay_alu instid0(VALU_DEP_2) | instskip(NEXT) | instid1(VALU_DEP_2)
	v_add_co_u32 v3, vcc_lo, v3, v14
	v_add_co_ci_u32_e32 v3, vcc_lo, v12, v15, vcc_lo
	v_add_co_ci_u32_e32 v12, vcc_lo, 0, v18, vcc_lo
	s_delay_alu instid0(VALU_DEP_2) | instskip(NEXT) | instid1(VALU_DEP_2)
	v_add_co_u32 v3, vcc_lo, v3, v17
	v_add_co_ci_u32_e32 v14, vcc_lo, 0, v12, vcc_lo
	s_delay_alu instid0(VALU_DEP_2) | instskip(SKIP_1) | instid1(VALU_DEP_3)
	v_mul_lo_u32 v15, s9, v3
	v_mad_u64_u32 v[12:13], null, s8, v3, 0
	v_mul_lo_u32 v17, s8, v14
	s_delay_alu instid0(VALU_DEP_2) | instskip(NEXT) | instid1(VALU_DEP_2)
	v_sub_co_u32 v12, vcc_lo, v19, v12
	v_add3_u32 v13, v13, v17, v15
	s_delay_alu instid0(VALU_DEP_1) | instskip(NEXT) | instid1(VALU_DEP_1)
	v_sub_nc_u32_e32 v15, v22, v13
	v_subrev_co_ci_u32_e64 v15, s0, s9, v15, vcc_lo
	v_add_co_u32 v17, s0, v3, 2
	s_delay_alu instid0(VALU_DEP_1) | instskip(SKIP_3) | instid1(VALU_DEP_3)
	v_add_co_ci_u32_e64 v18, s0, 0, v14, s0
	v_sub_co_u32 v19, s0, v12, s8
	v_sub_co_ci_u32_e32 v13, vcc_lo, v22, v13, vcc_lo
	v_subrev_co_ci_u32_e64 v15, s0, 0, v15, s0
	v_cmp_le_u32_e32 vcc_lo, s8, v19
	s_delay_alu instid0(VALU_DEP_3) | instskip(SKIP_1) | instid1(VALU_DEP_4)
	v_cmp_eq_u32_e64 s0, s9, v13
	v_cndmask_b32_e64 v19, 0, -1, vcc_lo
	v_cmp_le_u32_e32 vcc_lo, s9, v15
	v_cndmask_b32_e64 v20, 0, -1, vcc_lo
	v_cmp_le_u32_e32 vcc_lo, s8, v12
	;; [unrolled: 2-line block ×3, first 2 shown]
	v_cndmask_b32_e64 v22, 0, -1, vcc_lo
	v_cmp_eq_u32_e32 vcc_lo, s9, v15
	s_delay_alu instid0(VALU_DEP_2) | instskip(SKIP_3) | instid1(VALU_DEP_3)
	v_cndmask_b32_e64 v12, v22, v12, s0
	v_cndmask_b32_e32 v15, v20, v19, vcc_lo
	v_add_co_u32 v19, vcc_lo, v3, 1
	v_add_co_ci_u32_e32 v20, vcc_lo, 0, v14, vcc_lo
	v_cmp_ne_u32_e32 vcc_lo, 0, v15
	s_delay_alu instid0(VALU_DEP_2) | instskip(NEXT) | instid1(VALU_DEP_4)
	v_cndmask_b32_e32 v13, v20, v18, vcc_lo
	v_cndmask_b32_e32 v15, v19, v17, vcc_lo
	v_cmp_ne_u32_e32 vcc_lo, 0, v12
	v_xor_b32_e32 v17, s6, v21
	s_delay_alu instid0(VALU_DEP_3) | instskip(NEXT) | instid1(VALU_DEP_1)
	v_dual_cndmask_b32 v3, v3, v15 :: v_dual_cndmask_b32 v12, v14, v13
                                        ; implicit-def: $vgpr14_vgpr15
	v_xor_b32_e32 v3, v3, v17
	s_delay_alu instid0(VALU_DEP_2) | instskip(NEXT) | instid1(VALU_DEP_2)
	v_xor_b32_e32 v13, v12, v17
	v_sub_co_u32 v12, vcc_lo, v3, v17
	s_delay_alu instid0(VALU_DEP_2)
	v_sub_co_ci_u32_e32 v13, vcc_lo, v13, v17, vcc_lo
.LBB4_11:                               ;   in Loop: Header=BB4_4 Depth=1
	s_and_not1_saveexec_b32 s0, s5
	s_cbranch_execz .LBB4_13
; %bb.12:                               ;   in Loop: Header=BB4_4 Depth=1
	v_cvt_f32_u32_e32 v3, s24
	s_sub_i32 s5, 0, s24
	s_delay_alu instid0(VALU_DEP_1) | instskip(SKIP_2) | instid1(VALU_DEP_1)
	v_rcp_iflag_f32_e32 v3, v3
	s_waitcnt_depctr 0xfff
	v_mul_f32_e32 v3, 0x4f7ffffe, v3
	v_cvt_u32_f32_e32 v3, v3
	s_delay_alu instid0(VALU_DEP_1) | instskip(NEXT) | instid1(VALU_DEP_1)
	v_mul_lo_u32 v12, s5, v3
	v_mul_hi_u32 v12, v3, v12
	s_delay_alu instid0(VALU_DEP_1) | instskip(NEXT) | instid1(VALU_DEP_1)
	v_add_nc_u32_e32 v3, v3, v12
	v_mul_hi_u32 v3, v14, v3
	s_delay_alu instid0(VALU_DEP_1) | instskip(SKIP_1) | instid1(VALU_DEP_2)
	v_mul_lo_u32 v12, v3, s24
	v_add_nc_u32_e32 v13, 1, v3
	v_sub_nc_u32_e32 v12, v14, v12
	s_delay_alu instid0(VALU_DEP_1) | instskip(SKIP_1) | instid1(VALU_DEP_2)
	v_subrev_nc_u32_e32 v14, s24, v12
	v_cmp_le_u32_e32 vcc_lo, s24, v12
	v_dual_cndmask_b32 v12, v12, v14 :: v_dual_cndmask_b32 v3, v3, v13
	s_delay_alu instid0(VALU_DEP_1) | instskip(NEXT) | instid1(VALU_DEP_2)
	v_cmp_le_u32_e32 vcc_lo, s24, v12
	v_add_nc_u32_e32 v13, 1, v3
	s_delay_alu instid0(VALU_DEP_1)
	v_dual_cndmask_b32 v12, v3, v13 :: v_dual_mov_b32 v13, v2
.LBB4_13:                               ;   in Loop: Header=BB4_4 Depth=1
	s_or_b32 exec_lo, exec_lo, s0
	s_delay_alu instid0(VALU_DEP_1) | instskip(SKIP_1) | instid1(VALU_DEP_1)
	v_or_b32_e32 v3, s23, v13
                                        ; implicit-def: $vgpr14_vgpr15
	s_mov_b32 s0, exec_lo
	v_cmpx_ne_u64_e32 0, v[2:3]
	s_xor_b32 s5, exec_lo, s0
	s_cbranch_execz .LBB4_15
; %bb.14:                               ;   in Loop: Header=BB4_4 Depth=1
	s_ashr_i32 s8, s23, 31
	s_delay_alu instid0(SALU_CYCLE_1) | instskip(SKIP_2) | instid1(SALU_CYCLE_1)
	s_add_u32 s10, s22, s8
	s_mov_b32 s9, s8
	s_addc_u32 s11, s23, s8
	s_xor_b64 s[10:11], s[10:11], s[8:9]
	s_delay_alu instid0(SALU_CYCLE_1) | instskip(SKIP_3) | instid1(VALU_DEP_1)
	v_cvt_f32_u32_e32 v3, s10
	v_cvt_f32_u32_e32 v14, s11
	s_sub_u32 s0, 0, s10
	s_subb_u32 s7, 0, s11
	v_fmac_f32_e32 v3, 0x4f800000, v14
	s_delay_alu instid0(VALU_DEP_1) | instskip(SKIP_2) | instid1(VALU_DEP_1)
	v_rcp_f32_e32 v3, v3
	s_waitcnt_depctr 0xfff
	v_mul_f32_e32 v3, 0x5f7ffffc, v3
	v_mul_f32_e32 v14, 0x2f800000, v3
	s_delay_alu instid0(VALU_DEP_1) | instskip(NEXT) | instid1(VALU_DEP_1)
	v_trunc_f32_e32 v14, v14
	v_fmac_f32_e32 v3, 0xcf800000, v14
	v_cvt_u32_f32_e32 v14, v14
	s_delay_alu instid0(VALU_DEP_2) | instskip(NEXT) | instid1(VALU_DEP_2)
	v_cvt_u32_f32_e32 v3, v3
	v_mul_lo_u32 v15, s0, v14
	s_delay_alu instid0(VALU_DEP_2) | instskip(SKIP_1) | instid1(VALU_DEP_2)
	v_mul_hi_u32 v17, s0, v3
	v_mul_lo_u32 v18, s7, v3
	v_add_nc_u32_e32 v15, v17, v15
	v_mul_lo_u32 v17, s0, v3
	s_delay_alu instid0(VALU_DEP_2) | instskip(NEXT) | instid1(VALU_DEP_2)
	v_add_nc_u32_e32 v15, v15, v18
	v_mul_hi_u32 v18, v3, v17
	s_delay_alu instid0(VALU_DEP_2)
	v_mul_lo_u32 v19, v3, v15
	v_mul_hi_u32 v20, v3, v15
	v_mul_hi_u32 v21, v14, v17
	v_mul_lo_u32 v17, v14, v17
	v_mul_hi_u32 v22, v14, v15
	v_mul_lo_u32 v15, v14, v15
	v_add_co_u32 v18, vcc_lo, v18, v19
	v_add_co_ci_u32_e32 v19, vcc_lo, 0, v20, vcc_lo
	s_delay_alu instid0(VALU_DEP_2) | instskip(NEXT) | instid1(VALU_DEP_2)
	v_add_co_u32 v17, vcc_lo, v18, v17
	v_add_co_ci_u32_e32 v17, vcc_lo, v19, v21, vcc_lo
	v_add_co_ci_u32_e32 v18, vcc_lo, 0, v22, vcc_lo
	v_ashrrev_i32_e32 v21, 31, v13
	s_delay_alu instid0(VALU_DEP_3) | instskip(NEXT) | instid1(VALU_DEP_3)
	v_add_co_u32 v15, vcc_lo, v17, v15
	v_add_co_ci_u32_e32 v17, vcc_lo, 0, v18, vcc_lo
	s_delay_alu instid0(VALU_DEP_2) | instskip(NEXT) | instid1(VALU_DEP_2)
	v_add_co_u32 v3, vcc_lo, v3, v15
	v_add_co_ci_u32_e32 v14, vcc_lo, v14, v17, vcc_lo
	s_delay_alu instid0(VALU_DEP_2) | instskip(SKIP_1) | instid1(VALU_DEP_3)
	v_mul_hi_u32 v15, s0, v3
	v_mul_lo_u32 v18, s7, v3
	v_mul_lo_u32 v17, s0, v14
	s_delay_alu instid0(VALU_DEP_1) | instskip(SKIP_1) | instid1(VALU_DEP_2)
	v_add_nc_u32_e32 v15, v15, v17
	v_mul_lo_u32 v17, s0, v3
	v_add_nc_u32_e32 v15, v15, v18
	s_delay_alu instid0(VALU_DEP_2) | instskip(NEXT) | instid1(VALU_DEP_2)
	v_mul_hi_u32 v18, v3, v17
	v_mul_lo_u32 v19, v3, v15
	v_mul_hi_u32 v20, v3, v15
	v_mul_hi_u32 v22, v14, v17
	v_mul_lo_u32 v17, v14, v17
	v_mul_hi_u32 v23, v14, v15
	v_mul_lo_u32 v15, v14, v15
	v_add_co_u32 v18, vcc_lo, v18, v19
	v_add_co_ci_u32_e32 v19, vcc_lo, 0, v20, vcc_lo
	s_delay_alu instid0(VALU_DEP_2) | instskip(NEXT) | instid1(VALU_DEP_2)
	v_add_co_u32 v17, vcc_lo, v18, v17
	v_add_co_ci_u32_e32 v17, vcc_lo, v19, v22, vcc_lo
	v_add_co_ci_u32_e32 v18, vcc_lo, 0, v23, vcc_lo
	v_add_co_u32 v19, vcc_lo, v12, v21
	v_add_co_ci_u32_e32 v13, vcc_lo, v13, v21, vcc_lo
	s_delay_alu instid0(VALU_DEP_4) | instskip(NEXT) | instid1(VALU_DEP_4)
	v_add_co_u32 v15, vcc_lo, v17, v15
	v_add_co_ci_u32_e32 v17, vcc_lo, 0, v18, vcc_lo
	s_delay_alu instid0(VALU_DEP_4) | instskip(NEXT) | instid1(VALU_DEP_3)
	v_xor_b32_e32 v22, v19, v21
	v_add_co_u32 v3, vcc_lo, v3, v15
	s_delay_alu instid0(VALU_DEP_3) | instskip(SKIP_1) | instid1(VALU_DEP_3)
	v_add_co_ci_u32_e32 v15, vcc_lo, v14, v17, vcc_lo
	v_xor_b32_e32 v23, v13, v21
	v_mul_hi_u32 v24, v22, v3
	s_delay_alu instid0(VALU_DEP_3) | instskip(NEXT) | instid1(VALU_DEP_3)
	v_mad_u64_u32 v[13:14], null, v22, v15, 0
	v_mad_u64_u32 v[17:18], null, v23, v3, 0
	;; [unrolled: 1-line block ×3, first 2 shown]
	s_delay_alu instid0(VALU_DEP_3) | instskip(NEXT) | instid1(VALU_DEP_4)
	v_add_co_u32 v3, vcc_lo, v24, v13
	v_add_co_ci_u32_e32 v13, vcc_lo, 0, v14, vcc_lo
	s_delay_alu instid0(VALU_DEP_2) | instskip(NEXT) | instid1(VALU_DEP_2)
	v_add_co_u32 v3, vcc_lo, v3, v17
	v_add_co_ci_u32_e32 v3, vcc_lo, v13, v18, vcc_lo
	v_add_co_ci_u32_e32 v13, vcc_lo, 0, v20, vcc_lo
	s_delay_alu instid0(VALU_DEP_2) | instskip(NEXT) | instid1(VALU_DEP_2)
	v_add_co_u32 v3, vcc_lo, v3, v19
	v_add_co_ci_u32_e32 v15, vcc_lo, 0, v13, vcc_lo
	s_delay_alu instid0(VALU_DEP_2) | instskip(SKIP_1) | instid1(VALU_DEP_3)
	v_mul_lo_u32 v17, s11, v3
	v_mad_u64_u32 v[13:14], null, s10, v3, 0
	v_mul_lo_u32 v15, s10, v15
	s_delay_alu instid0(VALU_DEP_2) | instskip(NEXT) | instid1(VALU_DEP_2)
	v_sub_co_u32 v13, vcc_lo, v22, v13
	v_add3_u32 v14, v14, v15, v17
	v_add_co_u32 v17, s0, v3, 2
	s_delay_alu instid0(VALU_DEP_2) | instskip(NEXT) | instid1(VALU_DEP_1)
	v_sub_nc_u32_e32 v15, v23, v14
	v_subrev_co_ci_u32_e64 v15, s0, s11, v15, vcc_lo
	v_sub_co_u32 v18, s0, v13, s10
	v_sub_co_ci_u32_e32 v14, vcc_lo, v23, v14, vcc_lo
	s_delay_alu instid0(VALU_DEP_3) | instskip(NEXT) | instid1(VALU_DEP_3)
	v_subrev_co_ci_u32_e64 v15, s0, 0, v15, s0
	v_cmp_le_u32_e32 vcc_lo, s10, v18
	v_cndmask_b32_e64 v18, 0, -1, vcc_lo
	s_delay_alu instid0(VALU_DEP_3)
	v_cmp_le_u32_e32 vcc_lo, s11, v15
	v_cndmask_b32_e64 v19, 0, -1, vcc_lo
	v_cmp_le_u32_e32 vcc_lo, s10, v13
	v_cndmask_b32_e64 v13, 0, -1, vcc_lo
	;; [unrolled: 2-line block ×3, first 2 shown]
	v_cmp_eq_u32_e32 vcc_lo, s11, v15
	v_cndmask_b32_e32 v15, v19, v18, vcc_lo
	v_add_co_u32 v18, vcc_lo, v3, 1
	v_cmp_eq_u32_e32 vcc_lo, s11, v14
	v_cndmask_b32_e32 v13, v20, v13, vcc_lo
	s_delay_alu instid0(VALU_DEP_4) | instskip(NEXT) | instid1(VALU_DEP_4)
	v_cmp_ne_u32_e32 vcc_lo, 0, v15
	v_cndmask_b32_e32 v14, v18, v17, vcc_lo
	s_delay_alu instid0(VALU_DEP_3) | instskip(SKIP_1) | instid1(VALU_DEP_3)
	v_cmp_ne_u32_e32 vcc_lo, 0, v13
	v_xor_b32_e32 v13, s8, v21
	v_cndmask_b32_e32 v3, v3, v14, vcc_lo
	s_delay_alu instid0(VALU_DEP_1) | instskip(NEXT) | instid1(VALU_DEP_1)
	v_xor_b32_e32 v3, v3, v13
	v_sub_co_u32 v14, vcc_lo, v3, v13
.LBB4_15:                               ;   in Loop: Header=BB4_4 Depth=1
	s_and_not1_saveexec_b32 s0, s5
	s_cbranch_execz .LBB4_2
; %bb.16:                               ;   in Loop: Header=BB4_4 Depth=1
	v_cvt_f32_u32_e32 v3, s22
	s_sub_i32 s5, 0, s22
	s_delay_alu instid0(VALU_DEP_1) | instskip(SKIP_2) | instid1(VALU_DEP_1)
	v_rcp_iflag_f32_e32 v3, v3
	s_waitcnt_depctr 0xfff
	v_mul_f32_e32 v3, 0x4f7ffffe, v3
	v_cvt_u32_f32_e32 v3, v3
	s_delay_alu instid0(VALU_DEP_1) | instskip(NEXT) | instid1(VALU_DEP_1)
	v_mul_lo_u32 v13, s5, v3
	v_mul_hi_u32 v13, v3, v13
	s_delay_alu instid0(VALU_DEP_1) | instskip(NEXT) | instid1(VALU_DEP_1)
	v_add_nc_u32_e32 v3, v3, v13
	v_mul_hi_u32 v3, v12, v3
	s_delay_alu instid0(VALU_DEP_1) | instskip(SKIP_1) | instid1(VALU_DEP_2)
	v_mul_lo_u32 v13, v3, s22
	v_add_nc_u32_e32 v14, 1, v3
	v_sub_nc_u32_e32 v13, v12, v13
	s_delay_alu instid0(VALU_DEP_1) | instskip(SKIP_1) | instid1(VALU_DEP_4)
	v_cmp_le_u32_e32 vcc_lo, s22, v13
	v_subrev_nc_u32_e32 v15, s22, v13
	v_cndmask_b32_e32 v3, v3, v14, vcc_lo
	s_delay_alu instid0(VALU_DEP_1) | instskip(NEXT) | instid1(VALU_DEP_3)
	v_add_nc_u32_e32 v14, 1, v3
	v_cndmask_b32_e32 v13, v13, v15, vcc_lo
	s_delay_alu instid0(VALU_DEP_1) | instskip(NEXT) | instid1(VALU_DEP_3)
	v_cmp_le_u32_e32 vcc_lo, s22, v13
	v_cndmask_b32_e32 v14, v3, v14, vcc_lo
	s_branch .LBB4_2
.LBB4_17:
	s_or_b32 exec_lo, exec_lo, s1
	s_and_saveexec_b32 s0, s14
	s_delay_alu instid0(SALU_CYCLE_1)
	s_xor_b32 s0, exec_lo, s0
	s_cbranch_execnz .LBB4_19
.LBB4_18:
	s_nop 0
	s_sendmsg sendmsg(MSG_DEALLOC_VGPRS)
	s_endpgm
.LBB4_19:
	s_cbranch_execnz .LBB4_21
; %bb.20:
	; divergent unreachable
	s_nop 0
	s_sendmsg sendmsg(MSG_DEALLOC_VGPRS)
	s_endpgm
.LBB4_21:
	s_trap 2
	s_sendmsg_rtn_b32 s0, sendmsg(MSG_RTN_GET_DOORBELL)
	s_mov_b32 ttmp2, m0
	s_waitcnt lgkmcnt(0)
	s_and_b32 s0, s0, 0x3ff
	s_delay_alu instid0(SALU_CYCLE_1) | instskip(NEXT) | instid1(SALU_CYCLE_1)
	s_bitset1_b32 s0, 10
	s_mov_b32 m0, s0
	s_sendmsg sendmsg(MSG_INTERRUPT)
	s_mov_b32 m0, ttmp2
.LBB4_22:                               ; =>This Inner Loop Header: Depth=1
	s_sethalt 5
	s_branch .LBB4_22
	.section	.rodata,"a",@progbits
	.p2align	6, 0x0
	.amdhsa_kernel _ZN2at6native30max_unpooling2d_forward_kernelIsEEvlPKT_PKllllllPS2_
		.amdhsa_group_segment_fixed_size 0
		.amdhsa_private_segment_fixed_size 0
		.amdhsa_kernarg_size 328
		.amdhsa_user_sgpr_count 15
		.amdhsa_user_sgpr_dispatch_ptr 0
		.amdhsa_user_sgpr_queue_ptr 0
		.amdhsa_user_sgpr_kernarg_segment_ptr 1
		.amdhsa_user_sgpr_dispatch_id 0
		.amdhsa_user_sgpr_private_segment_size 0
		.amdhsa_wavefront_size32 1
		.amdhsa_uses_dynamic_stack 0
		.amdhsa_enable_private_segment 0
		.amdhsa_system_sgpr_workgroup_id_x 1
		.amdhsa_system_sgpr_workgroup_id_y 0
		.amdhsa_system_sgpr_workgroup_id_z 0
		.amdhsa_system_sgpr_workgroup_info 0
		.amdhsa_system_vgpr_workitem_id 0
		.amdhsa_next_free_vgpr 25
		.amdhsa_next_free_sgpr 32
		.amdhsa_reserve_vcc 1
		.amdhsa_float_round_mode_32 0
		.amdhsa_float_round_mode_16_64 0
		.amdhsa_float_denorm_mode_32 3
		.amdhsa_float_denorm_mode_16_64 3
		.amdhsa_dx10_clamp 1
		.amdhsa_ieee_mode 1
		.amdhsa_fp16_overflow 0
		.amdhsa_workgroup_processor_mode 1
		.amdhsa_memory_ordered 1
		.amdhsa_forward_progress 0
		.amdhsa_shared_vgpr_count 0
		.amdhsa_exception_fp_ieee_invalid_op 0
		.amdhsa_exception_fp_denorm_src 0
		.amdhsa_exception_fp_ieee_div_zero 0
		.amdhsa_exception_fp_ieee_overflow 0
		.amdhsa_exception_fp_ieee_underflow 0
		.amdhsa_exception_fp_ieee_inexact 0
		.amdhsa_exception_int_div_zero 0
	.end_amdhsa_kernel
	.section	.text._ZN2at6native30max_unpooling2d_forward_kernelIsEEvlPKT_PKllllllPS2_,"axG",@progbits,_ZN2at6native30max_unpooling2d_forward_kernelIsEEvlPKT_PKllllllPS2_,comdat
.Lfunc_end4:
	.size	_ZN2at6native30max_unpooling2d_forward_kernelIsEEvlPKT_PKllllllPS2_, .Lfunc_end4-_ZN2at6native30max_unpooling2d_forward_kernelIsEEvlPKT_PKllllllPS2_
                                        ; -- End function
	.section	.AMDGPU.csdata,"",@progbits
; Kernel info:
; codeLenInByte = 3572
; NumSgprs: 34
; NumVgprs: 25
; ScratchSize: 0
; MemoryBound: 0
; FloatMode: 240
; IeeeMode: 1
; LDSByteSize: 0 bytes/workgroup (compile time only)
; SGPRBlocks: 4
; VGPRBlocks: 3
; NumSGPRsForWavesPerEU: 34
; NumVGPRsForWavesPerEU: 25
; Occupancy: 16
; WaveLimiterHint : 1
; COMPUTE_PGM_RSRC2:SCRATCH_EN: 0
; COMPUTE_PGM_RSRC2:USER_SGPR: 15
; COMPUTE_PGM_RSRC2:TRAP_HANDLER: 0
; COMPUTE_PGM_RSRC2:TGID_X_EN: 1
; COMPUTE_PGM_RSRC2:TGID_Y_EN: 0
; COMPUTE_PGM_RSRC2:TGID_Z_EN: 0
; COMPUTE_PGM_RSRC2:TIDIG_COMP_CNT: 0
	.section	.text._ZN2at6native30max_unpooling2d_forward_kernelIdEEvlPKT_PKllllllPS2_,"axG",@progbits,_ZN2at6native30max_unpooling2d_forward_kernelIdEEvlPKT_PKllllllPS2_,comdat
	.protected	_ZN2at6native30max_unpooling2d_forward_kernelIdEEvlPKT_PKllllllPS2_ ; -- Begin function _ZN2at6native30max_unpooling2d_forward_kernelIdEEvlPKT_PKllllllPS2_
	.globl	_ZN2at6native30max_unpooling2d_forward_kernelIdEEvlPKT_PKllllllPS2_
	.p2align	8
	.type	_ZN2at6native30max_unpooling2d_forward_kernelIdEEvlPKT_PKllllllPS2_,@function
_ZN2at6native30max_unpooling2d_forward_kernelIdEEvlPKT_PKllllllPS2_: ; @_ZN2at6native30max_unpooling2d_forward_kernelIdEEvlPKT_PKllllllPS2_
; %bb.0:
	s_clause 0x1
	s_load_b32 s4, s[0:1], 0x54
	s_load_b512 s[16:31], s[0:1], 0x0
	v_mov_b32_e32 v2, 0
	s_add_u32 s2, s0, 0x48
	s_addc_u32 s3, s1, 0
	s_mov_b32 s5, exec_lo
	s_delay_alu instid0(VALU_DEP_1)
	v_mov_b32_e32 v1, v2
	s_waitcnt lgkmcnt(0)
	s_and_b32 s4, s4, 0xffff
	s_delay_alu instid0(VALU_DEP_1) | instid1(SALU_CYCLE_1)
	v_mad_u64_u32 v[4:5], null, s4, s15, v[0:1]
	s_delay_alu instid0(VALU_DEP_1)
	v_cmpx_gt_i64_e64 s[16:17], v[4:5]
	s_cbranch_execz .LBB5_18
; %bb.1:
	v_cvt_f32_u32_e32 v0, s26
	s_load_b64 s[6:7], s[0:1], 0x40
	s_load_b32 s5, s[2:3], 0x0
	s_sub_i32 s0, 0, s26
	s_mul_hi_u32 s3, s30, s28
	v_rcp_iflag_f32_e32 v0, v0
	s_mul_i32 s8, s31, s28
	s_mul_i32 s2, s30, s28
	s_mov_b32 s1, 0
                                        ; implicit-def: $sgpr14
                                        ; implicit-def: $sgpr28
                                        ; implicit-def: $sgpr15
	s_waitcnt_depctr 0xfff
	v_dual_mov_b32 v3, v4 :: v_dual_mul_f32 v0, 0x4f7ffffe, v0
	s_delay_alu instid0(VALU_DEP_1)
	v_cvt_u32_f32_e32 v6, v0
	s_waitcnt lgkmcnt(0)
	s_mul_i32 s12, s5, s4
	s_ashr_i32 s4, s27, 31
	s_mov_b32 s13, s12
	v_mul_lo_u32 v0, s0, v6
	s_mul_i32 s0, s30, s29
	s_delay_alu instid0(SALU_CYCLE_1) | instskip(NEXT) | instid1(SALU_CYCLE_1)
	s_add_i32 s0, s3, s0
	s_add_i32 s3, s0, s8
	s_delay_alu instid0(VALU_DEP_1) | instskip(SKIP_2) | instid1(VALU_DEP_2)
	v_mul_hi_u32 v7, v6, v0
	v_dual_mov_b32 v0, s6 :: v_dual_mov_b32 v1, s7
	s_ashr_i32 s6, s25, 31
	v_dual_mov_b32 v7, v3 :: v_dual_add_nc_u32 v16, v6, v7
	v_mov_b32_e32 v6, v2
	s_branch .LBB5_4
.LBB5_2:                                ;   in Loop: Header=BB5_4 Depth=1
	s_or_b32 exec_lo, exec_lo, s0
	v_lshlrev_b64 v[10:11], 3, v[10:11]
	s_delay_alu instid0(VALU_DEP_2) | instskip(SKIP_2) | instid1(VALU_DEP_1)
	v_mul_lo_u32 v3, v14, s22
	v_lshlrev_b64 v[8:9], 3, v[8:9]
	v_add_co_u32 v6, s0, v6, 0
	v_add_co_ci_u32_e64 v7, s0, s13, v7, s0
	v_add_co_u32 v10, vcc_lo, s18, v10
	v_add_co_ci_u32_e32 v11, vcc_lo, s19, v11, vcc_lo
	v_sub_nc_u32_e32 v12, v12, v3
	v_ashrrev_i32_e32 v3, 31, v14
	s_and_not1_b32 s0, s28, exec_lo
	global_load_b64 v[10:11], v[10:11], off
	s_and_not1_b32 s15, s15, exec_lo
	v_ashrrev_i32_e32 v13, 31, v12
	v_mul_lo_u32 v3, v3, s22
	s_delay_alu instid0(VALU_DEP_2) | instskip(SKIP_1) | instid1(VALU_DEP_2)
	v_mad_u64_u32 v[17:18], null, v14, s22, v[12:13]
	v_mul_lo_u32 v12, v14, s23
	v_mul_lo_u32 v14, s3, v17
	s_delay_alu instid0(VALU_DEP_2) | instskip(SKIP_1) | instid1(VALU_DEP_2)
	v_add3_u32 v3, v3, v18, v12
	v_mad_u64_u32 v[12:13], null, s2, v17, 0
	v_mul_lo_u32 v3, s2, v3
	s_delay_alu instid0(VALU_DEP_1) | instskip(NEXT) | instid1(VALU_DEP_1)
	v_add3_u32 v13, v13, v3, v14
	v_lshlrev_b64 v[12:13], 3, v[12:13]
	s_delay_alu instid0(VALU_DEP_1) | instskip(NEXT) | instid1(VALU_DEP_2)
	v_add_co_u32 v0, vcc_lo, v0, v12
	v_add_co_ci_u32_e32 v1, vcc_lo, v1, v13, vcc_lo
	v_add_co_u32 v4, vcc_lo, v4, s12
	v_add_co_ci_u32_e32 v5, vcc_lo, 0, v5, vcc_lo
	s_delay_alu instid0(VALU_DEP_4) | instskip(NEXT) | instid1(VALU_DEP_4)
	v_add_co_u32 v8, vcc_lo, v0, v8
	v_add_co_ci_u32_e32 v9, vcc_lo, v1, v9, vcc_lo
	s_delay_alu instid0(VALU_DEP_3) | instskip(SKIP_1) | instid1(SALU_CYCLE_1)
	v_cmp_le_i64_e32 vcc_lo, s[16:17], v[4:5]
	s_and_b32 s5, vcc_lo, exec_lo
	s_or_b32 s28, s0, s5
	s_waitcnt vmcnt(0)
	global_store_b64 v[8:9], v[10:11], off
.LBB5_3:                                ;   in Loop: Header=BB5_4 Depth=1
	s_or_b32 exec_lo, exec_lo, s29
	s_delay_alu instid0(SALU_CYCLE_1) | instskip(NEXT) | instid1(SALU_CYCLE_1)
	s_and_b32 s0, exec_lo, s28
	s_or_b32 s1, s0, s1
	s_and_not1_b32 s0, s14, exec_lo
	s_and_b32 s5, s15, exec_lo
	s_delay_alu instid0(SALU_CYCLE_1)
	s_or_b32 s14, s0, s5
	s_and_not1_b32 exec_lo, exec_lo, s1
	s_cbranch_execz .LBB5_17
.LBB5_4:                                ; =>This Inner Loop Header: Depth=1
	s_delay_alu instid0(VALU_DEP_1) | instskip(SKIP_2) | instid1(VALU_DEP_1)
	v_ashrrev_i64 v[8:9], 29, v[6:7]
	s_or_b32 s15, s15, exec_lo
	s_or_b32 s28, s28, exec_lo
	v_add_co_u32 v8, vcc_lo, s20, v8
	s_delay_alu instid0(VALU_DEP_2) | instskip(SKIP_4) | instid1(VALU_DEP_2)
	v_add_co_ci_u32_e32 v9, vcc_lo, s21, v9, vcc_lo
	global_load_b64 v[8:9], v[8:9], off
	s_waitcnt vmcnt(0)
	v_ashrrev_i32_e32 v9, 31, v8
	v_cmp_lt_i32_e64 s0, -1, v8
	v_cmp_gt_i64_e32 vcc_lo, s[2:3], v[8:9]
	s_delay_alu instid0(VALU_DEP_2) | instskip(NEXT) | instid1(SALU_CYCLE_1)
	s_and_b32 s0, s0, vcc_lo
	s_and_saveexec_b32 s29, s0
	s_cbranch_execz .LBB5_3
; %bb.5:                                ;   in Loop: Header=BB5_4 Depth=1
	v_ashrrev_i32_e32 v11, 31, v7
	v_mov_b32_e32 v10, v7
                                        ; implicit-def: $vgpr14_vgpr15
	s_mov_b32 s0, exec_lo
	s_delay_alu instid0(VALU_DEP_2) | instskip(NEXT) | instid1(VALU_DEP_1)
	v_or_b32_e32 v3, s27, v11
	v_cmpx_ne_u64_e32 0, v[2:3]
	s_xor_b32 s7, exec_lo, s0
	s_cbranch_execz .LBB5_7
; %bb.6:                                ;   in Loop: Header=BB5_4 Depth=1
	s_add_u32 s8, s26, s4
	s_mov_b32 s5, s4
	s_addc_u32 s9, s27, s4
	s_delay_alu instid0(SALU_CYCLE_1) | instskip(NEXT) | instid1(SALU_CYCLE_1)
	s_xor_b64 s[8:9], s[8:9], s[4:5]
	v_cvt_f32_u32_e32 v3, s8
	v_cvt_f32_u32_e32 v12, s9
	s_sub_u32 s0, 0, s8
	s_subb_u32 s5, 0, s9
	s_delay_alu instid0(VALU_DEP_1) | instskip(NEXT) | instid1(VALU_DEP_1)
	v_fmac_f32_e32 v3, 0x4f800000, v12
	v_rcp_f32_e32 v3, v3
	s_waitcnt_depctr 0xfff
	v_mul_f32_e32 v3, 0x5f7ffffc, v3
	s_delay_alu instid0(VALU_DEP_1) | instskip(NEXT) | instid1(VALU_DEP_1)
	v_mul_f32_e32 v12, 0x2f800000, v3
	v_trunc_f32_e32 v12, v12
	s_delay_alu instid0(VALU_DEP_1) | instskip(SKIP_1) | instid1(VALU_DEP_2)
	v_fmac_f32_e32 v3, 0xcf800000, v12
	v_cvt_u32_f32_e32 v12, v12
	v_cvt_u32_f32_e32 v3, v3
	s_delay_alu instid0(VALU_DEP_2) | instskip(NEXT) | instid1(VALU_DEP_2)
	v_mul_lo_u32 v13, s0, v12
	v_mul_hi_u32 v14, s0, v3
	v_mul_lo_u32 v15, s5, v3
	s_delay_alu instid0(VALU_DEP_2) | instskip(SKIP_1) | instid1(VALU_DEP_2)
	v_add_nc_u32_e32 v13, v14, v13
	v_mul_lo_u32 v14, s0, v3
	v_add_nc_u32_e32 v13, v13, v15
	s_delay_alu instid0(VALU_DEP_2) | instskip(NEXT) | instid1(VALU_DEP_2)
	v_mul_hi_u32 v15, v3, v14
	v_mul_lo_u32 v17, v3, v13
	v_mul_hi_u32 v18, v3, v13
	v_mul_hi_u32 v19, v12, v14
	v_mul_lo_u32 v14, v12, v14
	v_mul_hi_u32 v20, v12, v13
	v_mul_lo_u32 v13, v12, v13
	v_add_co_u32 v15, vcc_lo, v15, v17
	v_add_co_ci_u32_e32 v17, vcc_lo, 0, v18, vcc_lo
	s_delay_alu instid0(VALU_DEP_2) | instskip(NEXT) | instid1(VALU_DEP_2)
	v_add_co_u32 v14, vcc_lo, v15, v14
	v_add_co_ci_u32_e32 v14, vcc_lo, v17, v19, vcc_lo
	v_add_co_ci_u32_e32 v15, vcc_lo, 0, v20, vcc_lo
	v_ashrrev_i32_e32 v19, 31, v11
	s_delay_alu instid0(VALU_DEP_3) | instskip(NEXT) | instid1(VALU_DEP_3)
	v_add_co_u32 v13, vcc_lo, v14, v13
	v_add_co_ci_u32_e32 v14, vcc_lo, 0, v15, vcc_lo
	s_delay_alu instid0(VALU_DEP_2) | instskip(NEXT) | instid1(VALU_DEP_2)
	v_add_co_u32 v3, vcc_lo, v3, v13
	v_add_co_ci_u32_e32 v12, vcc_lo, v12, v14, vcc_lo
	s_delay_alu instid0(VALU_DEP_2) | instskip(SKIP_1) | instid1(VALU_DEP_3)
	v_mul_hi_u32 v13, s0, v3
	v_mul_lo_u32 v15, s5, v3
	v_mul_lo_u32 v14, s0, v12
	s_delay_alu instid0(VALU_DEP_1) | instskip(SKIP_1) | instid1(VALU_DEP_2)
	v_add_nc_u32_e32 v13, v13, v14
	v_mul_lo_u32 v14, s0, v3
	v_add_nc_u32_e32 v13, v13, v15
	s_delay_alu instid0(VALU_DEP_2) | instskip(NEXT) | instid1(VALU_DEP_2)
	v_mul_hi_u32 v15, v3, v14
	v_mul_lo_u32 v17, v3, v13
	v_mul_hi_u32 v18, v3, v13
	v_mul_hi_u32 v20, v12, v14
	v_mul_lo_u32 v14, v12, v14
	v_mul_hi_u32 v21, v12, v13
	v_mul_lo_u32 v13, v12, v13
	v_add_co_u32 v15, vcc_lo, v15, v17
	v_add_co_ci_u32_e32 v17, vcc_lo, 0, v18, vcc_lo
	s_delay_alu instid0(VALU_DEP_2) | instskip(NEXT) | instid1(VALU_DEP_2)
	v_add_co_u32 v14, vcc_lo, v15, v14
	v_add_co_ci_u32_e32 v14, vcc_lo, v17, v20, vcc_lo
	v_add_co_ci_u32_e32 v15, vcc_lo, 0, v21, vcc_lo
	v_add_co_u32 v17, vcc_lo, v10, v19
	v_add_co_ci_u32_e32 v18, vcc_lo, v11, v19, vcc_lo
	s_delay_alu instid0(VALU_DEP_4) | instskip(NEXT) | instid1(VALU_DEP_4)
	v_add_co_u32 v13, vcc_lo, v14, v13
	v_add_co_ci_u32_e32 v14, vcc_lo, 0, v15, vcc_lo
	s_delay_alu instid0(VALU_DEP_4) | instskip(NEXT) | instid1(VALU_DEP_3)
	v_xor_b32_e32 v20, v17, v19
	v_add_co_u32 v3, vcc_lo, v3, v13
	s_delay_alu instid0(VALU_DEP_3) | instskip(SKIP_1) | instid1(VALU_DEP_3)
	v_add_co_ci_u32_e32 v21, vcc_lo, v12, v14, vcc_lo
	v_xor_b32_e32 v22, v18, v19
	v_mul_hi_u32 v23, v20, v3
	s_delay_alu instid0(VALU_DEP_3) | instskip(NEXT) | instid1(VALU_DEP_3)
	v_mad_u64_u32 v[12:13], null, v20, v21, 0
	v_mad_u64_u32 v[14:15], null, v22, v3, 0
	v_mad_u64_u32 v[17:18], null, v22, v21, 0
	s_delay_alu instid0(VALU_DEP_3) | instskip(NEXT) | instid1(VALU_DEP_4)
	v_add_co_u32 v3, vcc_lo, v23, v12
	v_add_co_ci_u32_e32 v12, vcc_lo, 0, v13, vcc_lo
	s_delay_alu instid0(VALU_DEP_2) | instskip(NEXT) | instid1(VALU_DEP_2)
	v_add_co_u32 v3, vcc_lo, v3, v14
	v_add_co_ci_u32_e32 v3, vcc_lo, v12, v15, vcc_lo
	v_add_co_ci_u32_e32 v12, vcc_lo, 0, v18, vcc_lo
	s_delay_alu instid0(VALU_DEP_2) | instskip(NEXT) | instid1(VALU_DEP_2)
	v_add_co_u32 v3, vcc_lo, v3, v17
	v_add_co_ci_u32_e32 v14, vcc_lo, 0, v12, vcc_lo
	s_delay_alu instid0(VALU_DEP_2) | instskip(SKIP_1) | instid1(VALU_DEP_3)
	v_mul_lo_u32 v15, s9, v3
	v_mad_u64_u32 v[12:13], null, s8, v3, 0
	v_mul_lo_u32 v17, s8, v14
	s_delay_alu instid0(VALU_DEP_2) | instskip(NEXT) | instid1(VALU_DEP_2)
	v_sub_co_u32 v12, vcc_lo, v20, v12
	v_add3_u32 v13, v13, v17, v15
	s_delay_alu instid0(VALU_DEP_1) | instskip(NEXT) | instid1(VALU_DEP_1)
	v_sub_nc_u32_e32 v15, v22, v13
	v_subrev_co_ci_u32_e64 v15, s0, s9, v15, vcc_lo
	v_add_co_u32 v17, s0, v3, 2
	s_delay_alu instid0(VALU_DEP_1) | instskip(SKIP_3) | instid1(VALU_DEP_3)
	v_add_co_ci_u32_e64 v18, s0, 0, v14, s0
	v_sub_co_u32 v20, s0, v12, s8
	v_sub_co_ci_u32_e32 v13, vcc_lo, v22, v13, vcc_lo
	v_subrev_co_ci_u32_e64 v15, s0, 0, v15, s0
	v_cmp_le_u32_e32 vcc_lo, s8, v20
	s_delay_alu instid0(VALU_DEP_3) | instskip(SKIP_1) | instid1(VALU_DEP_4)
	v_cmp_eq_u32_e64 s0, s9, v13
	v_cndmask_b32_e64 v20, 0, -1, vcc_lo
	v_cmp_le_u32_e32 vcc_lo, s9, v15
	v_cndmask_b32_e64 v21, 0, -1, vcc_lo
	v_cmp_le_u32_e32 vcc_lo, s8, v12
	;; [unrolled: 2-line block ×3, first 2 shown]
	v_cndmask_b32_e64 v22, 0, -1, vcc_lo
	v_cmp_eq_u32_e32 vcc_lo, s9, v15
	s_delay_alu instid0(VALU_DEP_2) | instskip(SKIP_3) | instid1(VALU_DEP_3)
	v_cndmask_b32_e64 v12, v22, v12, s0
	v_cndmask_b32_e32 v15, v21, v20, vcc_lo
	v_add_co_u32 v20, vcc_lo, v3, 1
	v_add_co_ci_u32_e32 v21, vcc_lo, 0, v14, vcc_lo
	v_cmp_ne_u32_e32 vcc_lo, 0, v15
	s_delay_alu instid0(VALU_DEP_2) | instskip(NEXT) | instid1(VALU_DEP_4)
	v_cndmask_b32_e32 v13, v21, v18, vcc_lo
	v_cndmask_b32_e32 v15, v20, v17, vcc_lo
	v_cmp_ne_u32_e32 vcc_lo, 0, v12
	v_xor_b32_e32 v12, s4, v19
	s_delay_alu instid0(VALU_DEP_3) | instskip(SKIP_1) | instid1(VALU_DEP_2)
	v_cndmask_b32_e32 v3, v3, v15, vcc_lo
	v_cndmask_b32_e32 v13, v14, v13, vcc_lo
	v_xor_b32_e32 v3, v3, v12
	s_delay_alu instid0(VALU_DEP_2) | instskip(NEXT) | instid1(VALU_DEP_2)
	v_xor_b32_e32 v13, v13, v12
	v_sub_co_u32 v14, vcc_lo, v3, v12
	s_delay_alu instid0(VALU_DEP_2)
	v_sub_co_ci_u32_e32 v15, vcc_lo, v13, v12, vcc_lo
.LBB5_7:                                ;   in Loop: Header=BB5_4 Depth=1
	s_and_not1_saveexec_b32 s0, s7
; %bb.8:                                ;   in Loop: Header=BB5_4 Depth=1
	v_mul_hi_u32 v3, v7, v16
	v_mov_b32_e32 v15, v2
	s_delay_alu instid0(VALU_DEP_2) | instskip(NEXT) | instid1(VALU_DEP_1)
	v_mul_lo_u32 v12, v3, s26
	v_sub_nc_u32_e32 v12, v7, v12
	s_delay_alu instid0(VALU_DEP_1) | instskip(SKIP_1) | instid1(VALU_DEP_2)
	v_subrev_nc_u32_e32 v14, s26, v12
	v_cmp_le_u32_e32 vcc_lo, s26, v12
	v_dual_cndmask_b32 v12, v12, v14 :: v_dual_add_nc_u32 v13, 1, v3
	s_delay_alu instid0(VALU_DEP_1) | instskip(NEXT) | instid1(VALU_DEP_2)
	v_cndmask_b32_e32 v3, v3, v13, vcc_lo
	v_cmp_le_u32_e32 vcc_lo, s26, v12
	s_delay_alu instid0(VALU_DEP_2) | instskip(NEXT) | instid1(VALU_DEP_1)
	v_add_nc_u32_e32 v13, 1, v3
	v_cndmask_b32_e32 v14, v3, v13, vcc_lo
; %bb.9:                                ;   in Loop: Header=BB5_4 Depth=1
	s_or_b32 exec_lo, exec_lo, s0
	v_or_b32_e32 v3, s25, v15
                                        ; implicit-def: $vgpr12_vgpr13
	s_mov_b32 s0, exec_lo
	s_delay_alu instid0(VALU_DEP_1)
	v_cmpx_ne_u64_e32 0, v[2:3]
	s_xor_b32 s5, exec_lo, s0
	s_cbranch_execz .LBB5_11
; %bb.10:                               ;   in Loop: Header=BB5_4 Depth=1
	s_add_u32 s8, s24, s6
	s_mov_b32 s7, s6
	s_addc_u32 s9, s25, s6
	s_delay_alu instid0(SALU_CYCLE_1) | instskip(NEXT) | instid1(SALU_CYCLE_1)
	s_xor_b64 s[8:9], s[8:9], s[6:7]
	v_cvt_f32_u32_e32 v3, s8
	v_cvt_f32_u32_e32 v12, s9
	s_sub_u32 s0, 0, s8
	s_subb_u32 s7, 0, s9
	s_delay_alu instid0(VALU_DEP_1) | instskip(NEXT) | instid1(VALU_DEP_1)
	v_fmac_f32_e32 v3, 0x4f800000, v12
	v_rcp_f32_e32 v3, v3
	s_waitcnt_depctr 0xfff
	v_mul_f32_e32 v3, 0x5f7ffffc, v3
	s_delay_alu instid0(VALU_DEP_1) | instskip(NEXT) | instid1(VALU_DEP_1)
	v_mul_f32_e32 v12, 0x2f800000, v3
	v_trunc_f32_e32 v12, v12
	s_delay_alu instid0(VALU_DEP_1) | instskip(SKIP_1) | instid1(VALU_DEP_2)
	v_fmac_f32_e32 v3, 0xcf800000, v12
	v_cvt_u32_f32_e32 v12, v12
	v_cvt_u32_f32_e32 v3, v3
	s_delay_alu instid0(VALU_DEP_2) | instskip(NEXT) | instid1(VALU_DEP_2)
	v_mul_lo_u32 v13, s0, v12
	v_mul_hi_u32 v17, s0, v3
	v_mul_lo_u32 v18, s7, v3
	s_delay_alu instid0(VALU_DEP_2) | instskip(SKIP_1) | instid1(VALU_DEP_2)
	v_add_nc_u32_e32 v13, v17, v13
	v_mul_lo_u32 v17, s0, v3
	v_add_nc_u32_e32 v13, v13, v18
	s_delay_alu instid0(VALU_DEP_2) | instskip(NEXT) | instid1(VALU_DEP_2)
	v_mul_hi_u32 v18, v3, v17
	v_mul_lo_u32 v19, v3, v13
	v_mul_hi_u32 v20, v3, v13
	v_mul_hi_u32 v21, v12, v17
	v_mul_lo_u32 v17, v12, v17
	v_mul_hi_u32 v22, v12, v13
	v_mul_lo_u32 v13, v12, v13
	v_add_co_u32 v18, vcc_lo, v18, v19
	v_add_co_ci_u32_e32 v19, vcc_lo, 0, v20, vcc_lo
	s_delay_alu instid0(VALU_DEP_2) | instskip(NEXT) | instid1(VALU_DEP_2)
	v_add_co_u32 v17, vcc_lo, v18, v17
	v_add_co_ci_u32_e32 v17, vcc_lo, v19, v21, vcc_lo
	v_add_co_ci_u32_e32 v18, vcc_lo, 0, v22, vcc_lo
	v_ashrrev_i32_e32 v21, 31, v15
	s_delay_alu instid0(VALU_DEP_3) | instskip(NEXT) | instid1(VALU_DEP_3)
	v_add_co_u32 v13, vcc_lo, v17, v13
	v_add_co_ci_u32_e32 v17, vcc_lo, 0, v18, vcc_lo
	s_delay_alu instid0(VALU_DEP_2) | instskip(NEXT) | instid1(VALU_DEP_2)
	v_add_co_u32 v3, vcc_lo, v3, v13
	v_add_co_ci_u32_e32 v12, vcc_lo, v12, v17, vcc_lo
	s_delay_alu instid0(VALU_DEP_2) | instskip(SKIP_1) | instid1(VALU_DEP_3)
	v_mul_hi_u32 v13, s0, v3
	v_mul_lo_u32 v18, s7, v3
	v_mul_lo_u32 v17, s0, v12
	s_delay_alu instid0(VALU_DEP_1) | instskip(SKIP_1) | instid1(VALU_DEP_2)
	v_add_nc_u32_e32 v13, v13, v17
	v_mul_lo_u32 v17, s0, v3
	v_add_nc_u32_e32 v13, v13, v18
	s_delay_alu instid0(VALU_DEP_2) | instskip(NEXT) | instid1(VALU_DEP_2)
	v_mul_hi_u32 v18, v3, v17
	v_mul_lo_u32 v19, v3, v13
	v_mul_hi_u32 v20, v3, v13
	v_mul_hi_u32 v22, v12, v17
	v_mul_lo_u32 v17, v12, v17
	v_mul_hi_u32 v23, v12, v13
	v_mul_lo_u32 v13, v12, v13
	v_add_co_u32 v18, vcc_lo, v18, v19
	v_add_co_ci_u32_e32 v19, vcc_lo, 0, v20, vcc_lo
	s_delay_alu instid0(VALU_DEP_2) | instskip(NEXT) | instid1(VALU_DEP_2)
	v_add_co_u32 v17, vcc_lo, v18, v17
	v_add_co_ci_u32_e32 v17, vcc_lo, v19, v22, vcc_lo
	v_add_co_ci_u32_e32 v18, vcc_lo, 0, v23, vcc_lo
	v_add_co_u32 v14, vcc_lo, v14, v21
	v_add_co_ci_u32_e32 v15, vcc_lo, v15, v21, vcc_lo
	s_delay_alu instid0(VALU_DEP_4) | instskip(NEXT) | instid1(VALU_DEP_4)
	v_add_co_u32 v13, vcc_lo, v17, v13
	v_add_co_ci_u32_e32 v17, vcc_lo, 0, v18, vcc_lo
	s_delay_alu instid0(VALU_DEP_4) | instskip(NEXT) | instid1(VALU_DEP_3)
	v_xor_b32_e32 v19, v14, v21
	v_add_co_u32 v3, vcc_lo, v3, v13
	s_delay_alu instid0(VALU_DEP_3) | instskip(SKIP_1) | instid1(VALU_DEP_3)
	v_add_co_ci_u32_e32 v20, vcc_lo, v12, v17, vcc_lo
	v_xor_b32_e32 v22, v15, v21
	v_mul_hi_u32 v23, v19, v3
	s_delay_alu instid0(VALU_DEP_3) | instskip(NEXT) | instid1(VALU_DEP_3)
	v_mad_u64_u32 v[12:13], null, v19, v20, 0
	v_mad_u64_u32 v[14:15], null, v22, v3, 0
	;; [unrolled: 1-line block ×3, first 2 shown]
	s_delay_alu instid0(VALU_DEP_3) | instskip(NEXT) | instid1(VALU_DEP_4)
	v_add_co_u32 v3, vcc_lo, v23, v12
	v_add_co_ci_u32_e32 v12, vcc_lo, 0, v13, vcc_lo
	s_delay_alu instid0(VALU_DEP_2) | instskip(NEXT) | instid1(VALU_DEP_2)
	v_add_co_u32 v3, vcc_lo, v3, v14
	v_add_co_ci_u32_e32 v3, vcc_lo, v12, v15, vcc_lo
	v_add_co_ci_u32_e32 v12, vcc_lo, 0, v18, vcc_lo
	s_delay_alu instid0(VALU_DEP_2) | instskip(NEXT) | instid1(VALU_DEP_2)
	v_add_co_u32 v3, vcc_lo, v3, v17
	v_add_co_ci_u32_e32 v14, vcc_lo, 0, v12, vcc_lo
	s_delay_alu instid0(VALU_DEP_2) | instskip(SKIP_1) | instid1(VALU_DEP_3)
	v_mul_lo_u32 v15, s9, v3
	v_mad_u64_u32 v[12:13], null, s8, v3, 0
	v_mul_lo_u32 v17, s8, v14
	s_delay_alu instid0(VALU_DEP_2) | instskip(NEXT) | instid1(VALU_DEP_2)
	v_sub_co_u32 v12, vcc_lo, v19, v12
	v_add3_u32 v13, v13, v17, v15
	s_delay_alu instid0(VALU_DEP_1) | instskip(NEXT) | instid1(VALU_DEP_1)
	v_sub_nc_u32_e32 v15, v22, v13
	v_subrev_co_ci_u32_e64 v15, s0, s9, v15, vcc_lo
	v_add_co_u32 v17, s0, v3, 2
	s_delay_alu instid0(VALU_DEP_1) | instskip(SKIP_3) | instid1(VALU_DEP_3)
	v_add_co_ci_u32_e64 v18, s0, 0, v14, s0
	v_sub_co_u32 v19, s0, v12, s8
	v_sub_co_ci_u32_e32 v13, vcc_lo, v22, v13, vcc_lo
	v_subrev_co_ci_u32_e64 v15, s0, 0, v15, s0
	v_cmp_le_u32_e32 vcc_lo, s8, v19
	s_delay_alu instid0(VALU_DEP_3) | instskip(SKIP_1) | instid1(VALU_DEP_4)
	v_cmp_eq_u32_e64 s0, s9, v13
	v_cndmask_b32_e64 v19, 0, -1, vcc_lo
	v_cmp_le_u32_e32 vcc_lo, s9, v15
	v_cndmask_b32_e64 v20, 0, -1, vcc_lo
	v_cmp_le_u32_e32 vcc_lo, s8, v12
	;; [unrolled: 2-line block ×3, first 2 shown]
	v_cndmask_b32_e64 v22, 0, -1, vcc_lo
	v_cmp_eq_u32_e32 vcc_lo, s9, v15
	s_delay_alu instid0(VALU_DEP_2) | instskip(SKIP_3) | instid1(VALU_DEP_3)
	v_cndmask_b32_e64 v12, v22, v12, s0
	v_cndmask_b32_e32 v15, v20, v19, vcc_lo
	v_add_co_u32 v19, vcc_lo, v3, 1
	v_add_co_ci_u32_e32 v20, vcc_lo, 0, v14, vcc_lo
	v_cmp_ne_u32_e32 vcc_lo, 0, v15
	s_delay_alu instid0(VALU_DEP_2) | instskip(NEXT) | instid1(VALU_DEP_4)
	v_cndmask_b32_e32 v13, v20, v18, vcc_lo
	v_cndmask_b32_e32 v15, v19, v17, vcc_lo
	v_cmp_ne_u32_e32 vcc_lo, 0, v12
	v_xor_b32_e32 v17, s6, v21
	s_delay_alu instid0(VALU_DEP_3) | instskip(NEXT) | instid1(VALU_DEP_1)
	v_dual_cndmask_b32 v3, v3, v15 :: v_dual_cndmask_b32 v12, v14, v13
                                        ; implicit-def: $vgpr14_vgpr15
	v_xor_b32_e32 v3, v3, v17
	s_delay_alu instid0(VALU_DEP_2) | instskip(NEXT) | instid1(VALU_DEP_2)
	v_xor_b32_e32 v13, v12, v17
	v_sub_co_u32 v12, vcc_lo, v3, v17
	s_delay_alu instid0(VALU_DEP_2)
	v_sub_co_ci_u32_e32 v13, vcc_lo, v13, v17, vcc_lo
.LBB5_11:                               ;   in Loop: Header=BB5_4 Depth=1
	s_and_not1_saveexec_b32 s0, s5
	s_cbranch_execz .LBB5_13
; %bb.12:                               ;   in Loop: Header=BB5_4 Depth=1
	v_cvt_f32_u32_e32 v3, s24
	s_sub_i32 s5, 0, s24
	s_delay_alu instid0(VALU_DEP_1) | instskip(SKIP_2) | instid1(VALU_DEP_1)
	v_rcp_iflag_f32_e32 v3, v3
	s_waitcnt_depctr 0xfff
	v_mul_f32_e32 v3, 0x4f7ffffe, v3
	v_cvt_u32_f32_e32 v3, v3
	s_delay_alu instid0(VALU_DEP_1) | instskip(NEXT) | instid1(VALU_DEP_1)
	v_mul_lo_u32 v12, s5, v3
	v_mul_hi_u32 v12, v3, v12
	s_delay_alu instid0(VALU_DEP_1) | instskip(NEXT) | instid1(VALU_DEP_1)
	v_add_nc_u32_e32 v3, v3, v12
	v_mul_hi_u32 v3, v14, v3
	s_delay_alu instid0(VALU_DEP_1) | instskip(SKIP_1) | instid1(VALU_DEP_2)
	v_mul_lo_u32 v12, v3, s24
	v_add_nc_u32_e32 v13, 1, v3
	v_sub_nc_u32_e32 v12, v14, v12
	s_delay_alu instid0(VALU_DEP_1) | instskip(SKIP_1) | instid1(VALU_DEP_2)
	v_subrev_nc_u32_e32 v14, s24, v12
	v_cmp_le_u32_e32 vcc_lo, s24, v12
	v_dual_cndmask_b32 v12, v12, v14 :: v_dual_cndmask_b32 v3, v3, v13
	s_delay_alu instid0(VALU_DEP_1) | instskip(NEXT) | instid1(VALU_DEP_2)
	v_cmp_le_u32_e32 vcc_lo, s24, v12
	v_add_nc_u32_e32 v13, 1, v3
	s_delay_alu instid0(VALU_DEP_1)
	v_dual_cndmask_b32 v12, v3, v13 :: v_dual_mov_b32 v13, v2
.LBB5_13:                               ;   in Loop: Header=BB5_4 Depth=1
	s_or_b32 exec_lo, exec_lo, s0
	s_delay_alu instid0(VALU_DEP_1) | instskip(SKIP_1) | instid1(VALU_DEP_1)
	v_or_b32_e32 v3, s23, v13
                                        ; implicit-def: $vgpr14_vgpr15
	s_mov_b32 s0, exec_lo
	v_cmpx_ne_u64_e32 0, v[2:3]
	s_xor_b32 s5, exec_lo, s0
	s_cbranch_execz .LBB5_15
; %bb.14:                               ;   in Loop: Header=BB5_4 Depth=1
	s_ashr_i32 s8, s23, 31
	s_delay_alu instid0(SALU_CYCLE_1) | instskip(SKIP_2) | instid1(SALU_CYCLE_1)
	s_add_u32 s10, s22, s8
	s_mov_b32 s9, s8
	s_addc_u32 s11, s23, s8
	s_xor_b64 s[10:11], s[10:11], s[8:9]
	s_delay_alu instid0(SALU_CYCLE_1) | instskip(SKIP_3) | instid1(VALU_DEP_1)
	v_cvt_f32_u32_e32 v3, s10
	v_cvt_f32_u32_e32 v14, s11
	s_sub_u32 s0, 0, s10
	s_subb_u32 s7, 0, s11
	v_fmac_f32_e32 v3, 0x4f800000, v14
	s_delay_alu instid0(VALU_DEP_1) | instskip(SKIP_2) | instid1(VALU_DEP_1)
	v_rcp_f32_e32 v3, v3
	s_waitcnt_depctr 0xfff
	v_mul_f32_e32 v3, 0x5f7ffffc, v3
	v_mul_f32_e32 v14, 0x2f800000, v3
	s_delay_alu instid0(VALU_DEP_1) | instskip(NEXT) | instid1(VALU_DEP_1)
	v_trunc_f32_e32 v14, v14
	v_fmac_f32_e32 v3, 0xcf800000, v14
	v_cvt_u32_f32_e32 v14, v14
	s_delay_alu instid0(VALU_DEP_2) | instskip(NEXT) | instid1(VALU_DEP_2)
	v_cvt_u32_f32_e32 v3, v3
	v_mul_lo_u32 v15, s0, v14
	s_delay_alu instid0(VALU_DEP_2) | instskip(SKIP_1) | instid1(VALU_DEP_2)
	v_mul_hi_u32 v17, s0, v3
	v_mul_lo_u32 v18, s7, v3
	v_add_nc_u32_e32 v15, v17, v15
	v_mul_lo_u32 v17, s0, v3
	s_delay_alu instid0(VALU_DEP_2) | instskip(NEXT) | instid1(VALU_DEP_2)
	v_add_nc_u32_e32 v15, v15, v18
	v_mul_hi_u32 v18, v3, v17
	s_delay_alu instid0(VALU_DEP_2)
	v_mul_lo_u32 v19, v3, v15
	v_mul_hi_u32 v20, v3, v15
	v_mul_hi_u32 v21, v14, v17
	v_mul_lo_u32 v17, v14, v17
	v_mul_hi_u32 v22, v14, v15
	v_mul_lo_u32 v15, v14, v15
	v_add_co_u32 v18, vcc_lo, v18, v19
	v_add_co_ci_u32_e32 v19, vcc_lo, 0, v20, vcc_lo
	s_delay_alu instid0(VALU_DEP_2) | instskip(NEXT) | instid1(VALU_DEP_2)
	v_add_co_u32 v17, vcc_lo, v18, v17
	v_add_co_ci_u32_e32 v17, vcc_lo, v19, v21, vcc_lo
	v_add_co_ci_u32_e32 v18, vcc_lo, 0, v22, vcc_lo
	v_ashrrev_i32_e32 v21, 31, v13
	s_delay_alu instid0(VALU_DEP_3) | instskip(NEXT) | instid1(VALU_DEP_3)
	v_add_co_u32 v15, vcc_lo, v17, v15
	v_add_co_ci_u32_e32 v17, vcc_lo, 0, v18, vcc_lo
	s_delay_alu instid0(VALU_DEP_2) | instskip(NEXT) | instid1(VALU_DEP_2)
	v_add_co_u32 v3, vcc_lo, v3, v15
	v_add_co_ci_u32_e32 v14, vcc_lo, v14, v17, vcc_lo
	s_delay_alu instid0(VALU_DEP_2) | instskip(SKIP_1) | instid1(VALU_DEP_3)
	v_mul_hi_u32 v15, s0, v3
	v_mul_lo_u32 v18, s7, v3
	v_mul_lo_u32 v17, s0, v14
	s_delay_alu instid0(VALU_DEP_1) | instskip(SKIP_1) | instid1(VALU_DEP_2)
	v_add_nc_u32_e32 v15, v15, v17
	v_mul_lo_u32 v17, s0, v3
	v_add_nc_u32_e32 v15, v15, v18
	s_delay_alu instid0(VALU_DEP_2) | instskip(NEXT) | instid1(VALU_DEP_2)
	v_mul_hi_u32 v18, v3, v17
	v_mul_lo_u32 v19, v3, v15
	v_mul_hi_u32 v20, v3, v15
	v_mul_hi_u32 v22, v14, v17
	v_mul_lo_u32 v17, v14, v17
	v_mul_hi_u32 v23, v14, v15
	v_mul_lo_u32 v15, v14, v15
	v_add_co_u32 v18, vcc_lo, v18, v19
	v_add_co_ci_u32_e32 v19, vcc_lo, 0, v20, vcc_lo
	s_delay_alu instid0(VALU_DEP_2) | instskip(NEXT) | instid1(VALU_DEP_2)
	v_add_co_u32 v17, vcc_lo, v18, v17
	v_add_co_ci_u32_e32 v17, vcc_lo, v19, v22, vcc_lo
	v_add_co_ci_u32_e32 v18, vcc_lo, 0, v23, vcc_lo
	v_add_co_u32 v19, vcc_lo, v12, v21
	v_add_co_ci_u32_e32 v13, vcc_lo, v13, v21, vcc_lo
	s_delay_alu instid0(VALU_DEP_4) | instskip(NEXT) | instid1(VALU_DEP_4)
	v_add_co_u32 v15, vcc_lo, v17, v15
	v_add_co_ci_u32_e32 v17, vcc_lo, 0, v18, vcc_lo
	s_delay_alu instid0(VALU_DEP_4) | instskip(NEXT) | instid1(VALU_DEP_3)
	v_xor_b32_e32 v22, v19, v21
	v_add_co_u32 v3, vcc_lo, v3, v15
	s_delay_alu instid0(VALU_DEP_3) | instskip(SKIP_1) | instid1(VALU_DEP_3)
	v_add_co_ci_u32_e32 v15, vcc_lo, v14, v17, vcc_lo
	v_xor_b32_e32 v23, v13, v21
	v_mul_hi_u32 v24, v22, v3
	s_delay_alu instid0(VALU_DEP_3) | instskip(NEXT) | instid1(VALU_DEP_3)
	v_mad_u64_u32 v[13:14], null, v22, v15, 0
	v_mad_u64_u32 v[17:18], null, v23, v3, 0
	;; [unrolled: 1-line block ×3, first 2 shown]
	s_delay_alu instid0(VALU_DEP_3) | instskip(NEXT) | instid1(VALU_DEP_4)
	v_add_co_u32 v3, vcc_lo, v24, v13
	v_add_co_ci_u32_e32 v13, vcc_lo, 0, v14, vcc_lo
	s_delay_alu instid0(VALU_DEP_2) | instskip(NEXT) | instid1(VALU_DEP_2)
	v_add_co_u32 v3, vcc_lo, v3, v17
	v_add_co_ci_u32_e32 v3, vcc_lo, v13, v18, vcc_lo
	v_add_co_ci_u32_e32 v13, vcc_lo, 0, v20, vcc_lo
	s_delay_alu instid0(VALU_DEP_2) | instskip(NEXT) | instid1(VALU_DEP_2)
	v_add_co_u32 v3, vcc_lo, v3, v19
	v_add_co_ci_u32_e32 v15, vcc_lo, 0, v13, vcc_lo
	s_delay_alu instid0(VALU_DEP_2) | instskip(SKIP_1) | instid1(VALU_DEP_3)
	v_mul_lo_u32 v17, s11, v3
	v_mad_u64_u32 v[13:14], null, s10, v3, 0
	v_mul_lo_u32 v15, s10, v15
	s_delay_alu instid0(VALU_DEP_2) | instskip(NEXT) | instid1(VALU_DEP_2)
	v_sub_co_u32 v13, vcc_lo, v22, v13
	v_add3_u32 v14, v14, v15, v17
	v_add_co_u32 v17, s0, v3, 2
	s_delay_alu instid0(VALU_DEP_2) | instskip(NEXT) | instid1(VALU_DEP_1)
	v_sub_nc_u32_e32 v15, v23, v14
	v_subrev_co_ci_u32_e64 v15, s0, s11, v15, vcc_lo
	v_sub_co_u32 v18, s0, v13, s10
	v_sub_co_ci_u32_e32 v14, vcc_lo, v23, v14, vcc_lo
	s_delay_alu instid0(VALU_DEP_3) | instskip(NEXT) | instid1(VALU_DEP_3)
	v_subrev_co_ci_u32_e64 v15, s0, 0, v15, s0
	v_cmp_le_u32_e32 vcc_lo, s10, v18
	v_cndmask_b32_e64 v18, 0, -1, vcc_lo
	s_delay_alu instid0(VALU_DEP_3)
	v_cmp_le_u32_e32 vcc_lo, s11, v15
	v_cndmask_b32_e64 v19, 0, -1, vcc_lo
	v_cmp_le_u32_e32 vcc_lo, s10, v13
	v_cndmask_b32_e64 v13, 0, -1, vcc_lo
	v_cmp_le_u32_e32 vcc_lo, s11, v14
	v_cndmask_b32_e64 v20, 0, -1, vcc_lo
	v_cmp_eq_u32_e32 vcc_lo, s11, v15
	v_cndmask_b32_e32 v15, v19, v18, vcc_lo
	v_add_co_u32 v18, vcc_lo, v3, 1
	v_cmp_eq_u32_e32 vcc_lo, s11, v14
	v_cndmask_b32_e32 v13, v20, v13, vcc_lo
	s_delay_alu instid0(VALU_DEP_4) | instskip(NEXT) | instid1(VALU_DEP_4)
	v_cmp_ne_u32_e32 vcc_lo, 0, v15
	v_cndmask_b32_e32 v14, v18, v17, vcc_lo
	s_delay_alu instid0(VALU_DEP_3) | instskip(SKIP_1) | instid1(VALU_DEP_3)
	v_cmp_ne_u32_e32 vcc_lo, 0, v13
	v_xor_b32_e32 v13, s8, v21
	v_cndmask_b32_e32 v3, v3, v14, vcc_lo
	s_delay_alu instid0(VALU_DEP_1) | instskip(NEXT) | instid1(VALU_DEP_1)
	v_xor_b32_e32 v3, v3, v13
	v_sub_co_u32 v14, vcc_lo, v3, v13
.LBB5_15:                               ;   in Loop: Header=BB5_4 Depth=1
	s_and_not1_saveexec_b32 s0, s5
	s_cbranch_execz .LBB5_2
; %bb.16:                               ;   in Loop: Header=BB5_4 Depth=1
	v_cvt_f32_u32_e32 v3, s22
	s_sub_i32 s5, 0, s22
	s_delay_alu instid0(VALU_DEP_1) | instskip(SKIP_2) | instid1(VALU_DEP_1)
	v_rcp_iflag_f32_e32 v3, v3
	s_waitcnt_depctr 0xfff
	v_mul_f32_e32 v3, 0x4f7ffffe, v3
	v_cvt_u32_f32_e32 v3, v3
	s_delay_alu instid0(VALU_DEP_1) | instskip(NEXT) | instid1(VALU_DEP_1)
	v_mul_lo_u32 v13, s5, v3
	v_mul_hi_u32 v13, v3, v13
	s_delay_alu instid0(VALU_DEP_1) | instskip(NEXT) | instid1(VALU_DEP_1)
	v_add_nc_u32_e32 v3, v3, v13
	v_mul_hi_u32 v3, v12, v3
	s_delay_alu instid0(VALU_DEP_1) | instskip(SKIP_1) | instid1(VALU_DEP_2)
	v_mul_lo_u32 v13, v3, s22
	v_add_nc_u32_e32 v14, 1, v3
	v_sub_nc_u32_e32 v13, v12, v13
	s_delay_alu instid0(VALU_DEP_1) | instskip(SKIP_1) | instid1(VALU_DEP_4)
	v_cmp_le_u32_e32 vcc_lo, s22, v13
	v_subrev_nc_u32_e32 v15, s22, v13
	v_cndmask_b32_e32 v3, v3, v14, vcc_lo
	s_delay_alu instid0(VALU_DEP_1) | instskip(NEXT) | instid1(VALU_DEP_3)
	v_add_nc_u32_e32 v14, 1, v3
	v_cndmask_b32_e32 v13, v13, v15, vcc_lo
	s_delay_alu instid0(VALU_DEP_1) | instskip(NEXT) | instid1(VALU_DEP_3)
	v_cmp_le_u32_e32 vcc_lo, s22, v13
	v_cndmask_b32_e32 v14, v3, v14, vcc_lo
	s_branch .LBB5_2
.LBB5_17:
	s_or_b32 exec_lo, exec_lo, s1
	s_and_saveexec_b32 s0, s14
	s_delay_alu instid0(SALU_CYCLE_1)
	s_xor_b32 s0, exec_lo, s0
	s_cbranch_execnz .LBB5_19
.LBB5_18:
	s_nop 0
	s_sendmsg sendmsg(MSG_DEALLOC_VGPRS)
	s_endpgm
.LBB5_19:
	s_cbranch_execnz .LBB5_21
; %bb.20:
	; divergent unreachable
	s_nop 0
	s_sendmsg sendmsg(MSG_DEALLOC_VGPRS)
	s_endpgm
.LBB5_21:
	s_trap 2
	s_sendmsg_rtn_b32 s0, sendmsg(MSG_RTN_GET_DOORBELL)
	s_mov_b32 ttmp2, m0
	s_waitcnt lgkmcnt(0)
	s_and_b32 s0, s0, 0x3ff
	s_delay_alu instid0(SALU_CYCLE_1) | instskip(NEXT) | instid1(SALU_CYCLE_1)
	s_bitset1_b32 s0, 10
	s_mov_b32 m0, s0
	s_sendmsg sendmsg(MSG_INTERRUPT)
	s_mov_b32 m0, ttmp2
.LBB5_22:                               ; =>This Inner Loop Header: Depth=1
	s_sethalt 5
	s_branch .LBB5_22
	.section	.rodata,"a",@progbits
	.p2align	6, 0x0
	.amdhsa_kernel _ZN2at6native30max_unpooling2d_forward_kernelIdEEvlPKT_PKllllllPS2_
		.amdhsa_group_segment_fixed_size 0
		.amdhsa_private_segment_fixed_size 0
		.amdhsa_kernarg_size 328
		.amdhsa_user_sgpr_count 15
		.amdhsa_user_sgpr_dispatch_ptr 0
		.amdhsa_user_sgpr_queue_ptr 0
		.amdhsa_user_sgpr_kernarg_segment_ptr 1
		.amdhsa_user_sgpr_dispatch_id 0
		.amdhsa_user_sgpr_private_segment_size 0
		.amdhsa_wavefront_size32 1
		.amdhsa_uses_dynamic_stack 0
		.amdhsa_enable_private_segment 0
		.amdhsa_system_sgpr_workgroup_id_x 1
		.amdhsa_system_sgpr_workgroup_id_y 0
		.amdhsa_system_sgpr_workgroup_id_z 0
		.amdhsa_system_sgpr_workgroup_info 0
		.amdhsa_system_vgpr_workitem_id 0
		.amdhsa_next_free_vgpr 25
		.amdhsa_next_free_sgpr 32
		.amdhsa_reserve_vcc 1
		.amdhsa_float_round_mode_32 0
		.amdhsa_float_round_mode_16_64 0
		.amdhsa_float_denorm_mode_32 3
		.amdhsa_float_denorm_mode_16_64 3
		.amdhsa_dx10_clamp 1
		.amdhsa_ieee_mode 1
		.amdhsa_fp16_overflow 0
		.amdhsa_workgroup_processor_mode 1
		.amdhsa_memory_ordered 1
		.amdhsa_forward_progress 0
		.amdhsa_shared_vgpr_count 0
		.amdhsa_exception_fp_ieee_invalid_op 0
		.amdhsa_exception_fp_denorm_src 0
		.amdhsa_exception_fp_ieee_div_zero 0
		.amdhsa_exception_fp_ieee_overflow 0
		.amdhsa_exception_fp_ieee_underflow 0
		.amdhsa_exception_fp_ieee_inexact 0
		.amdhsa_exception_int_div_zero 0
	.end_amdhsa_kernel
	.section	.text._ZN2at6native30max_unpooling2d_forward_kernelIdEEvlPKT_PKllllllPS2_,"axG",@progbits,_ZN2at6native30max_unpooling2d_forward_kernelIdEEvlPKT_PKllllllPS2_,comdat
.Lfunc_end5:
	.size	_ZN2at6native30max_unpooling2d_forward_kernelIdEEvlPKT_PKllllllPS2_, .Lfunc_end5-_ZN2at6native30max_unpooling2d_forward_kernelIdEEvlPKT_PKllllllPS2_
                                        ; -- End function
	.section	.AMDGPU.csdata,"",@progbits
; Kernel info:
; codeLenInByte = 3568
; NumSgprs: 34
; NumVgprs: 25
; ScratchSize: 0
; MemoryBound: 0
; FloatMode: 240
; IeeeMode: 1
; LDSByteSize: 0 bytes/workgroup (compile time only)
; SGPRBlocks: 4
; VGPRBlocks: 3
; NumSGPRsForWavesPerEU: 34
; NumVGPRsForWavesPerEU: 25
; Occupancy: 16
; WaveLimiterHint : 1
; COMPUTE_PGM_RSRC2:SCRATCH_EN: 0
; COMPUTE_PGM_RSRC2:USER_SGPR: 15
; COMPUTE_PGM_RSRC2:TRAP_HANDLER: 0
; COMPUTE_PGM_RSRC2:TGID_X_EN: 1
; COMPUTE_PGM_RSRC2:TGID_Y_EN: 0
; COMPUTE_PGM_RSRC2:TGID_Z_EN: 0
; COMPUTE_PGM_RSRC2:TIDIG_COMP_CNT: 0
	.section	.text._ZN2at6native30max_unpooling2d_forward_kernelIfEEvlPKT_PKllllllPS2_,"axG",@progbits,_ZN2at6native30max_unpooling2d_forward_kernelIfEEvlPKT_PKllllllPS2_,comdat
	.protected	_ZN2at6native30max_unpooling2d_forward_kernelIfEEvlPKT_PKllllllPS2_ ; -- Begin function _ZN2at6native30max_unpooling2d_forward_kernelIfEEvlPKT_PKllllllPS2_
	.globl	_ZN2at6native30max_unpooling2d_forward_kernelIfEEvlPKT_PKllllllPS2_
	.p2align	8
	.type	_ZN2at6native30max_unpooling2d_forward_kernelIfEEvlPKT_PKllllllPS2_,@function
_ZN2at6native30max_unpooling2d_forward_kernelIfEEvlPKT_PKllllllPS2_: ; @_ZN2at6native30max_unpooling2d_forward_kernelIfEEvlPKT_PKllllllPS2_
; %bb.0:
	s_clause 0x1
	s_load_b32 s4, s[0:1], 0x54
	s_load_b512 s[16:31], s[0:1], 0x0
	v_mov_b32_e32 v2, 0
	s_add_u32 s2, s0, 0x48
	s_addc_u32 s3, s1, 0
	s_mov_b32 s5, exec_lo
	s_delay_alu instid0(VALU_DEP_1)
	v_mov_b32_e32 v1, v2
	s_waitcnt lgkmcnt(0)
	s_and_b32 s4, s4, 0xffff
	s_delay_alu instid0(VALU_DEP_1) | instid1(SALU_CYCLE_1)
	v_mad_u64_u32 v[4:5], null, s4, s15, v[0:1]
	s_delay_alu instid0(VALU_DEP_1)
	v_cmpx_gt_i64_e64 s[16:17], v[4:5]
	s_cbranch_execz .LBB6_18
; %bb.1:
	v_cvt_f32_u32_e32 v0, s26
	s_load_b64 s[6:7], s[0:1], 0x40
	s_load_b32 s5, s[2:3], 0x0
	s_sub_i32 s0, 0, s26
	s_mul_hi_u32 s3, s30, s28
	v_rcp_iflag_f32_e32 v0, v0
	s_mul_i32 s8, s31, s28
	s_mul_i32 s2, s30, s28
	s_mov_b32 s1, 0
                                        ; implicit-def: $sgpr14
                                        ; implicit-def: $sgpr28
                                        ; implicit-def: $sgpr15
	s_waitcnt_depctr 0xfff
	v_dual_mov_b32 v3, v4 :: v_dual_mul_f32 v0, 0x4f7ffffe, v0
	s_delay_alu instid0(VALU_DEP_1)
	v_cvt_u32_f32_e32 v6, v0
	s_waitcnt lgkmcnt(0)
	s_mul_i32 s12, s5, s4
	s_ashr_i32 s4, s27, 31
	s_mov_b32 s13, s12
	v_mul_lo_u32 v0, s0, v6
	s_mul_i32 s0, s30, s29
	s_delay_alu instid0(SALU_CYCLE_1) | instskip(NEXT) | instid1(SALU_CYCLE_1)
	s_add_i32 s0, s3, s0
	s_add_i32 s3, s0, s8
	s_delay_alu instid0(VALU_DEP_1) | instskip(SKIP_2) | instid1(VALU_DEP_2)
	v_mul_hi_u32 v7, v6, v0
	v_dual_mov_b32 v0, s6 :: v_dual_mov_b32 v1, s7
	s_ashr_i32 s6, s25, 31
	v_dual_mov_b32 v7, v3 :: v_dual_add_nc_u32 v16, v6, v7
	v_mov_b32_e32 v6, v2
	s_branch .LBB6_4
.LBB6_2:                                ;   in Loop: Header=BB6_4 Depth=1
	s_or_b32 exec_lo, exec_lo, s0
	v_lshlrev_b64 v[10:11], 2, v[10:11]
	s_delay_alu instid0(VALU_DEP_2) | instskip(SKIP_2) | instid1(VALU_DEP_1)
	v_ashrrev_i32_e32 v15, 31, v14
	v_lshlrev_b64 v[8:9], 2, v[8:9]
	v_add_co_u32 v6, s0, v6, 0
	v_add_co_ci_u32_e64 v7, s0, s13, v7, s0
	v_add_co_u32 v10, vcc_lo, s18, v10
	v_add_co_ci_u32_e32 v11, vcc_lo, s19, v11, vcc_lo
	s_and_not1_b32 s0, s28, exec_lo
	s_and_not1_b32 s15, s15, exec_lo
	global_load_b32 v3, v[10:11], off
	v_mul_lo_u32 v10, v14, s22
	s_delay_alu instid0(VALU_DEP_1) | instskip(NEXT) | instid1(VALU_DEP_1)
	v_sub_nc_u32_e32 v10, v12, v10
	v_ashrrev_i32_e32 v11, 31, v10
	s_delay_alu instid0(VALU_DEP_1) | instskip(SKIP_2) | instid1(VALU_DEP_1)
	v_mad_u64_u32 v[12:13], null, v14, s22, v[10:11]
	v_mul_lo_u32 v10, v14, s23
	v_mul_lo_u32 v11, v15, s22
	v_add3_u32 v10, v11, v13, v10
	s_delay_alu instid0(VALU_DEP_4) | instskip(NEXT) | instid1(VALU_DEP_2)
	v_mul_lo_u32 v13, s3, v12
	v_mul_lo_u32 v14, s2, v10
	v_mad_u64_u32 v[10:11], null, s2, v12, 0
	s_delay_alu instid0(VALU_DEP_1) | instskip(NEXT) | instid1(VALU_DEP_1)
	v_add3_u32 v11, v11, v14, v13
	v_lshlrev_b64 v[10:11], 2, v[10:11]
	s_delay_alu instid0(VALU_DEP_1) | instskip(NEXT) | instid1(VALU_DEP_2)
	v_add_co_u32 v0, vcc_lo, v0, v10
	v_add_co_ci_u32_e32 v1, vcc_lo, v1, v11, vcc_lo
	v_add_co_u32 v4, vcc_lo, v4, s12
	v_add_co_ci_u32_e32 v5, vcc_lo, 0, v5, vcc_lo
	s_delay_alu instid0(VALU_DEP_4) | instskip(NEXT) | instid1(VALU_DEP_4)
	v_add_co_u32 v8, vcc_lo, v0, v8
	v_add_co_ci_u32_e32 v9, vcc_lo, v1, v9, vcc_lo
	s_delay_alu instid0(VALU_DEP_3) | instskip(SKIP_1) | instid1(SALU_CYCLE_1)
	v_cmp_le_i64_e32 vcc_lo, s[16:17], v[4:5]
	s_and_b32 s5, vcc_lo, exec_lo
	s_or_b32 s28, s0, s5
	s_waitcnt vmcnt(0)
	global_store_b32 v[8:9], v3, off
.LBB6_3:                                ;   in Loop: Header=BB6_4 Depth=1
	s_or_b32 exec_lo, exec_lo, s29
	s_delay_alu instid0(SALU_CYCLE_1) | instskip(NEXT) | instid1(SALU_CYCLE_1)
	s_and_b32 s0, exec_lo, s28
	s_or_b32 s1, s0, s1
	s_and_not1_b32 s0, s14, exec_lo
	s_and_b32 s5, s15, exec_lo
	s_delay_alu instid0(SALU_CYCLE_1)
	s_or_b32 s14, s0, s5
	s_and_not1_b32 exec_lo, exec_lo, s1
	s_cbranch_execz .LBB6_17
.LBB6_4:                                ; =>This Inner Loop Header: Depth=1
	s_delay_alu instid0(VALU_DEP_1) | instskip(SKIP_2) | instid1(VALU_DEP_1)
	v_ashrrev_i64 v[8:9], 29, v[6:7]
	s_or_b32 s15, s15, exec_lo
	s_or_b32 s28, s28, exec_lo
	v_add_co_u32 v8, vcc_lo, s20, v8
	s_delay_alu instid0(VALU_DEP_2) | instskip(SKIP_4) | instid1(VALU_DEP_2)
	v_add_co_ci_u32_e32 v9, vcc_lo, s21, v9, vcc_lo
	global_load_b64 v[8:9], v[8:9], off
	s_waitcnt vmcnt(0)
	v_ashrrev_i32_e32 v9, 31, v8
	v_cmp_lt_i32_e64 s0, -1, v8
	v_cmp_gt_i64_e32 vcc_lo, s[2:3], v[8:9]
	s_delay_alu instid0(VALU_DEP_2) | instskip(NEXT) | instid1(SALU_CYCLE_1)
	s_and_b32 s0, s0, vcc_lo
	s_and_saveexec_b32 s29, s0
	s_cbranch_execz .LBB6_3
; %bb.5:                                ;   in Loop: Header=BB6_4 Depth=1
	v_ashrrev_i32_e32 v11, 31, v7
	v_mov_b32_e32 v10, v7
                                        ; implicit-def: $vgpr14_vgpr15
	s_mov_b32 s0, exec_lo
	s_delay_alu instid0(VALU_DEP_2) | instskip(NEXT) | instid1(VALU_DEP_1)
	v_or_b32_e32 v3, s27, v11
	v_cmpx_ne_u64_e32 0, v[2:3]
	s_xor_b32 s7, exec_lo, s0
	s_cbranch_execz .LBB6_7
; %bb.6:                                ;   in Loop: Header=BB6_4 Depth=1
	s_add_u32 s8, s26, s4
	s_mov_b32 s5, s4
	s_addc_u32 s9, s27, s4
	s_delay_alu instid0(SALU_CYCLE_1) | instskip(NEXT) | instid1(SALU_CYCLE_1)
	s_xor_b64 s[8:9], s[8:9], s[4:5]
	v_cvt_f32_u32_e32 v3, s8
	v_cvt_f32_u32_e32 v12, s9
	s_sub_u32 s0, 0, s8
	s_subb_u32 s5, 0, s9
	s_delay_alu instid0(VALU_DEP_1) | instskip(NEXT) | instid1(VALU_DEP_1)
	v_fmac_f32_e32 v3, 0x4f800000, v12
	v_rcp_f32_e32 v3, v3
	s_waitcnt_depctr 0xfff
	v_mul_f32_e32 v3, 0x5f7ffffc, v3
	s_delay_alu instid0(VALU_DEP_1) | instskip(NEXT) | instid1(VALU_DEP_1)
	v_mul_f32_e32 v12, 0x2f800000, v3
	v_trunc_f32_e32 v12, v12
	s_delay_alu instid0(VALU_DEP_1) | instskip(SKIP_1) | instid1(VALU_DEP_2)
	v_fmac_f32_e32 v3, 0xcf800000, v12
	v_cvt_u32_f32_e32 v12, v12
	v_cvt_u32_f32_e32 v3, v3
	s_delay_alu instid0(VALU_DEP_2) | instskip(NEXT) | instid1(VALU_DEP_2)
	v_mul_lo_u32 v13, s0, v12
	v_mul_hi_u32 v14, s0, v3
	v_mul_lo_u32 v15, s5, v3
	s_delay_alu instid0(VALU_DEP_2) | instskip(SKIP_1) | instid1(VALU_DEP_2)
	v_add_nc_u32_e32 v13, v14, v13
	v_mul_lo_u32 v14, s0, v3
	v_add_nc_u32_e32 v13, v13, v15
	s_delay_alu instid0(VALU_DEP_2) | instskip(NEXT) | instid1(VALU_DEP_2)
	v_mul_hi_u32 v15, v3, v14
	v_mul_lo_u32 v17, v3, v13
	v_mul_hi_u32 v18, v3, v13
	v_mul_hi_u32 v19, v12, v14
	v_mul_lo_u32 v14, v12, v14
	v_mul_hi_u32 v20, v12, v13
	v_mul_lo_u32 v13, v12, v13
	v_add_co_u32 v15, vcc_lo, v15, v17
	v_add_co_ci_u32_e32 v17, vcc_lo, 0, v18, vcc_lo
	s_delay_alu instid0(VALU_DEP_2) | instskip(NEXT) | instid1(VALU_DEP_2)
	v_add_co_u32 v14, vcc_lo, v15, v14
	v_add_co_ci_u32_e32 v14, vcc_lo, v17, v19, vcc_lo
	v_add_co_ci_u32_e32 v15, vcc_lo, 0, v20, vcc_lo
	v_ashrrev_i32_e32 v19, 31, v11
	s_delay_alu instid0(VALU_DEP_3) | instskip(NEXT) | instid1(VALU_DEP_3)
	v_add_co_u32 v13, vcc_lo, v14, v13
	v_add_co_ci_u32_e32 v14, vcc_lo, 0, v15, vcc_lo
	s_delay_alu instid0(VALU_DEP_2) | instskip(NEXT) | instid1(VALU_DEP_2)
	v_add_co_u32 v3, vcc_lo, v3, v13
	v_add_co_ci_u32_e32 v12, vcc_lo, v12, v14, vcc_lo
	s_delay_alu instid0(VALU_DEP_2) | instskip(SKIP_1) | instid1(VALU_DEP_3)
	v_mul_hi_u32 v13, s0, v3
	v_mul_lo_u32 v15, s5, v3
	v_mul_lo_u32 v14, s0, v12
	s_delay_alu instid0(VALU_DEP_1) | instskip(SKIP_1) | instid1(VALU_DEP_2)
	v_add_nc_u32_e32 v13, v13, v14
	v_mul_lo_u32 v14, s0, v3
	v_add_nc_u32_e32 v13, v13, v15
	s_delay_alu instid0(VALU_DEP_2) | instskip(NEXT) | instid1(VALU_DEP_2)
	v_mul_hi_u32 v15, v3, v14
	v_mul_lo_u32 v17, v3, v13
	v_mul_hi_u32 v18, v3, v13
	v_mul_hi_u32 v20, v12, v14
	v_mul_lo_u32 v14, v12, v14
	v_mul_hi_u32 v21, v12, v13
	v_mul_lo_u32 v13, v12, v13
	v_add_co_u32 v15, vcc_lo, v15, v17
	v_add_co_ci_u32_e32 v17, vcc_lo, 0, v18, vcc_lo
	s_delay_alu instid0(VALU_DEP_2) | instskip(NEXT) | instid1(VALU_DEP_2)
	v_add_co_u32 v14, vcc_lo, v15, v14
	v_add_co_ci_u32_e32 v14, vcc_lo, v17, v20, vcc_lo
	v_add_co_ci_u32_e32 v15, vcc_lo, 0, v21, vcc_lo
	v_add_co_u32 v17, vcc_lo, v10, v19
	v_add_co_ci_u32_e32 v18, vcc_lo, v11, v19, vcc_lo
	s_delay_alu instid0(VALU_DEP_4) | instskip(NEXT) | instid1(VALU_DEP_4)
	v_add_co_u32 v13, vcc_lo, v14, v13
	v_add_co_ci_u32_e32 v14, vcc_lo, 0, v15, vcc_lo
	s_delay_alu instid0(VALU_DEP_4) | instskip(NEXT) | instid1(VALU_DEP_3)
	v_xor_b32_e32 v20, v17, v19
	v_add_co_u32 v3, vcc_lo, v3, v13
	s_delay_alu instid0(VALU_DEP_3) | instskip(SKIP_1) | instid1(VALU_DEP_3)
	v_add_co_ci_u32_e32 v21, vcc_lo, v12, v14, vcc_lo
	v_xor_b32_e32 v22, v18, v19
	v_mul_hi_u32 v23, v20, v3
	s_delay_alu instid0(VALU_DEP_3) | instskip(NEXT) | instid1(VALU_DEP_3)
	v_mad_u64_u32 v[12:13], null, v20, v21, 0
	v_mad_u64_u32 v[14:15], null, v22, v3, 0
	;; [unrolled: 1-line block ×3, first 2 shown]
	s_delay_alu instid0(VALU_DEP_3) | instskip(NEXT) | instid1(VALU_DEP_4)
	v_add_co_u32 v3, vcc_lo, v23, v12
	v_add_co_ci_u32_e32 v12, vcc_lo, 0, v13, vcc_lo
	s_delay_alu instid0(VALU_DEP_2) | instskip(NEXT) | instid1(VALU_DEP_2)
	v_add_co_u32 v3, vcc_lo, v3, v14
	v_add_co_ci_u32_e32 v3, vcc_lo, v12, v15, vcc_lo
	v_add_co_ci_u32_e32 v12, vcc_lo, 0, v18, vcc_lo
	s_delay_alu instid0(VALU_DEP_2) | instskip(NEXT) | instid1(VALU_DEP_2)
	v_add_co_u32 v3, vcc_lo, v3, v17
	v_add_co_ci_u32_e32 v14, vcc_lo, 0, v12, vcc_lo
	s_delay_alu instid0(VALU_DEP_2) | instskip(SKIP_1) | instid1(VALU_DEP_3)
	v_mul_lo_u32 v15, s9, v3
	v_mad_u64_u32 v[12:13], null, s8, v3, 0
	v_mul_lo_u32 v17, s8, v14
	s_delay_alu instid0(VALU_DEP_2) | instskip(NEXT) | instid1(VALU_DEP_2)
	v_sub_co_u32 v12, vcc_lo, v20, v12
	v_add3_u32 v13, v13, v17, v15
	s_delay_alu instid0(VALU_DEP_1) | instskip(NEXT) | instid1(VALU_DEP_1)
	v_sub_nc_u32_e32 v15, v22, v13
	v_subrev_co_ci_u32_e64 v15, s0, s9, v15, vcc_lo
	v_add_co_u32 v17, s0, v3, 2
	s_delay_alu instid0(VALU_DEP_1) | instskip(SKIP_3) | instid1(VALU_DEP_3)
	v_add_co_ci_u32_e64 v18, s0, 0, v14, s0
	v_sub_co_u32 v20, s0, v12, s8
	v_sub_co_ci_u32_e32 v13, vcc_lo, v22, v13, vcc_lo
	v_subrev_co_ci_u32_e64 v15, s0, 0, v15, s0
	v_cmp_le_u32_e32 vcc_lo, s8, v20
	s_delay_alu instid0(VALU_DEP_3) | instskip(SKIP_1) | instid1(VALU_DEP_4)
	v_cmp_eq_u32_e64 s0, s9, v13
	v_cndmask_b32_e64 v20, 0, -1, vcc_lo
	v_cmp_le_u32_e32 vcc_lo, s9, v15
	v_cndmask_b32_e64 v21, 0, -1, vcc_lo
	v_cmp_le_u32_e32 vcc_lo, s8, v12
	;; [unrolled: 2-line block ×3, first 2 shown]
	v_cndmask_b32_e64 v22, 0, -1, vcc_lo
	v_cmp_eq_u32_e32 vcc_lo, s9, v15
	s_delay_alu instid0(VALU_DEP_2) | instskip(SKIP_3) | instid1(VALU_DEP_3)
	v_cndmask_b32_e64 v12, v22, v12, s0
	v_cndmask_b32_e32 v15, v21, v20, vcc_lo
	v_add_co_u32 v20, vcc_lo, v3, 1
	v_add_co_ci_u32_e32 v21, vcc_lo, 0, v14, vcc_lo
	v_cmp_ne_u32_e32 vcc_lo, 0, v15
	s_delay_alu instid0(VALU_DEP_2) | instskip(NEXT) | instid1(VALU_DEP_4)
	v_cndmask_b32_e32 v13, v21, v18, vcc_lo
	v_cndmask_b32_e32 v15, v20, v17, vcc_lo
	v_cmp_ne_u32_e32 vcc_lo, 0, v12
	v_xor_b32_e32 v12, s4, v19
	s_delay_alu instid0(VALU_DEP_3) | instskip(SKIP_1) | instid1(VALU_DEP_2)
	v_cndmask_b32_e32 v3, v3, v15, vcc_lo
	v_cndmask_b32_e32 v13, v14, v13, vcc_lo
	v_xor_b32_e32 v3, v3, v12
	s_delay_alu instid0(VALU_DEP_2) | instskip(NEXT) | instid1(VALU_DEP_2)
	v_xor_b32_e32 v13, v13, v12
	v_sub_co_u32 v14, vcc_lo, v3, v12
	s_delay_alu instid0(VALU_DEP_2)
	v_sub_co_ci_u32_e32 v15, vcc_lo, v13, v12, vcc_lo
.LBB6_7:                                ;   in Loop: Header=BB6_4 Depth=1
	s_and_not1_saveexec_b32 s0, s7
; %bb.8:                                ;   in Loop: Header=BB6_4 Depth=1
	v_mul_hi_u32 v3, v7, v16
	v_mov_b32_e32 v15, v2
	s_delay_alu instid0(VALU_DEP_2) | instskip(NEXT) | instid1(VALU_DEP_1)
	v_mul_lo_u32 v12, v3, s26
	v_sub_nc_u32_e32 v12, v7, v12
	s_delay_alu instid0(VALU_DEP_1) | instskip(SKIP_1) | instid1(VALU_DEP_2)
	v_subrev_nc_u32_e32 v14, s26, v12
	v_cmp_le_u32_e32 vcc_lo, s26, v12
	v_dual_cndmask_b32 v12, v12, v14 :: v_dual_add_nc_u32 v13, 1, v3
	s_delay_alu instid0(VALU_DEP_1) | instskip(NEXT) | instid1(VALU_DEP_2)
	v_cndmask_b32_e32 v3, v3, v13, vcc_lo
	v_cmp_le_u32_e32 vcc_lo, s26, v12
	s_delay_alu instid0(VALU_DEP_2) | instskip(NEXT) | instid1(VALU_DEP_1)
	v_add_nc_u32_e32 v13, 1, v3
	v_cndmask_b32_e32 v14, v3, v13, vcc_lo
; %bb.9:                                ;   in Loop: Header=BB6_4 Depth=1
	s_or_b32 exec_lo, exec_lo, s0
	v_or_b32_e32 v3, s25, v15
                                        ; implicit-def: $vgpr12_vgpr13
	s_mov_b32 s0, exec_lo
	s_delay_alu instid0(VALU_DEP_1)
	v_cmpx_ne_u64_e32 0, v[2:3]
	s_xor_b32 s5, exec_lo, s0
	s_cbranch_execz .LBB6_11
; %bb.10:                               ;   in Loop: Header=BB6_4 Depth=1
	s_add_u32 s8, s24, s6
	s_mov_b32 s7, s6
	s_addc_u32 s9, s25, s6
	s_delay_alu instid0(SALU_CYCLE_1) | instskip(NEXT) | instid1(SALU_CYCLE_1)
	s_xor_b64 s[8:9], s[8:9], s[6:7]
	v_cvt_f32_u32_e32 v3, s8
	v_cvt_f32_u32_e32 v12, s9
	s_sub_u32 s0, 0, s8
	s_subb_u32 s7, 0, s9
	s_delay_alu instid0(VALU_DEP_1) | instskip(NEXT) | instid1(VALU_DEP_1)
	v_fmac_f32_e32 v3, 0x4f800000, v12
	v_rcp_f32_e32 v3, v3
	s_waitcnt_depctr 0xfff
	v_mul_f32_e32 v3, 0x5f7ffffc, v3
	s_delay_alu instid0(VALU_DEP_1) | instskip(NEXT) | instid1(VALU_DEP_1)
	v_mul_f32_e32 v12, 0x2f800000, v3
	v_trunc_f32_e32 v12, v12
	s_delay_alu instid0(VALU_DEP_1) | instskip(SKIP_1) | instid1(VALU_DEP_2)
	v_fmac_f32_e32 v3, 0xcf800000, v12
	v_cvt_u32_f32_e32 v12, v12
	v_cvt_u32_f32_e32 v3, v3
	s_delay_alu instid0(VALU_DEP_2) | instskip(NEXT) | instid1(VALU_DEP_2)
	v_mul_lo_u32 v13, s0, v12
	v_mul_hi_u32 v17, s0, v3
	v_mul_lo_u32 v18, s7, v3
	s_delay_alu instid0(VALU_DEP_2) | instskip(SKIP_1) | instid1(VALU_DEP_2)
	v_add_nc_u32_e32 v13, v17, v13
	v_mul_lo_u32 v17, s0, v3
	v_add_nc_u32_e32 v13, v13, v18
	s_delay_alu instid0(VALU_DEP_2) | instskip(NEXT) | instid1(VALU_DEP_2)
	v_mul_hi_u32 v18, v3, v17
	v_mul_lo_u32 v19, v3, v13
	v_mul_hi_u32 v20, v3, v13
	v_mul_hi_u32 v21, v12, v17
	v_mul_lo_u32 v17, v12, v17
	v_mul_hi_u32 v22, v12, v13
	v_mul_lo_u32 v13, v12, v13
	v_add_co_u32 v18, vcc_lo, v18, v19
	v_add_co_ci_u32_e32 v19, vcc_lo, 0, v20, vcc_lo
	s_delay_alu instid0(VALU_DEP_2) | instskip(NEXT) | instid1(VALU_DEP_2)
	v_add_co_u32 v17, vcc_lo, v18, v17
	v_add_co_ci_u32_e32 v17, vcc_lo, v19, v21, vcc_lo
	v_add_co_ci_u32_e32 v18, vcc_lo, 0, v22, vcc_lo
	v_ashrrev_i32_e32 v21, 31, v15
	s_delay_alu instid0(VALU_DEP_3) | instskip(NEXT) | instid1(VALU_DEP_3)
	v_add_co_u32 v13, vcc_lo, v17, v13
	v_add_co_ci_u32_e32 v17, vcc_lo, 0, v18, vcc_lo
	s_delay_alu instid0(VALU_DEP_2) | instskip(NEXT) | instid1(VALU_DEP_2)
	v_add_co_u32 v3, vcc_lo, v3, v13
	v_add_co_ci_u32_e32 v12, vcc_lo, v12, v17, vcc_lo
	s_delay_alu instid0(VALU_DEP_2) | instskip(SKIP_1) | instid1(VALU_DEP_3)
	v_mul_hi_u32 v13, s0, v3
	v_mul_lo_u32 v18, s7, v3
	v_mul_lo_u32 v17, s0, v12
	s_delay_alu instid0(VALU_DEP_1) | instskip(SKIP_1) | instid1(VALU_DEP_2)
	v_add_nc_u32_e32 v13, v13, v17
	v_mul_lo_u32 v17, s0, v3
	v_add_nc_u32_e32 v13, v13, v18
	s_delay_alu instid0(VALU_DEP_2) | instskip(NEXT) | instid1(VALU_DEP_2)
	v_mul_hi_u32 v18, v3, v17
	v_mul_lo_u32 v19, v3, v13
	v_mul_hi_u32 v20, v3, v13
	v_mul_hi_u32 v22, v12, v17
	v_mul_lo_u32 v17, v12, v17
	v_mul_hi_u32 v23, v12, v13
	v_mul_lo_u32 v13, v12, v13
	v_add_co_u32 v18, vcc_lo, v18, v19
	v_add_co_ci_u32_e32 v19, vcc_lo, 0, v20, vcc_lo
	s_delay_alu instid0(VALU_DEP_2) | instskip(NEXT) | instid1(VALU_DEP_2)
	v_add_co_u32 v17, vcc_lo, v18, v17
	v_add_co_ci_u32_e32 v17, vcc_lo, v19, v22, vcc_lo
	v_add_co_ci_u32_e32 v18, vcc_lo, 0, v23, vcc_lo
	v_add_co_u32 v14, vcc_lo, v14, v21
	v_add_co_ci_u32_e32 v15, vcc_lo, v15, v21, vcc_lo
	s_delay_alu instid0(VALU_DEP_4) | instskip(NEXT) | instid1(VALU_DEP_4)
	v_add_co_u32 v13, vcc_lo, v17, v13
	v_add_co_ci_u32_e32 v17, vcc_lo, 0, v18, vcc_lo
	s_delay_alu instid0(VALU_DEP_4) | instskip(NEXT) | instid1(VALU_DEP_3)
	v_xor_b32_e32 v19, v14, v21
	v_add_co_u32 v3, vcc_lo, v3, v13
	s_delay_alu instid0(VALU_DEP_3) | instskip(SKIP_1) | instid1(VALU_DEP_3)
	v_add_co_ci_u32_e32 v20, vcc_lo, v12, v17, vcc_lo
	v_xor_b32_e32 v22, v15, v21
	v_mul_hi_u32 v23, v19, v3
	s_delay_alu instid0(VALU_DEP_3) | instskip(NEXT) | instid1(VALU_DEP_3)
	v_mad_u64_u32 v[12:13], null, v19, v20, 0
	v_mad_u64_u32 v[14:15], null, v22, v3, 0
	;; [unrolled: 1-line block ×3, first 2 shown]
	s_delay_alu instid0(VALU_DEP_3) | instskip(NEXT) | instid1(VALU_DEP_4)
	v_add_co_u32 v3, vcc_lo, v23, v12
	v_add_co_ci_u32_e32 v12, vcc_lo, 0, v13, vcc_lo
	s_delay_alu instid0(VALU_DEP_2) | instskip(NEXT) | instid1(VALU_DEP_2)
	v_add_co_u32 v3, vcc_lo, v3, v14
	v_add_co_ci_u32_e32 v3, vcc_lo, v12, v15, vcc_lo
	v_add_co_ci_u32_e32 v12, vcc_lo, 0, v18, vcc_lo
	s_delay_alu instid0(VALU_DEP_2) | instskip(NEXT) | instid1(VALU_DEP_2)
	v_add_co_u32 v3, vcc_lo, v3, v17
	v_add_co_ci_u32_e32 v14, vcc_lo, 0, v12, vcc_lo
	s_delay_alu instid0(VALU_DEP_2) | instskip(SKIP_1) | instid1(VALU_DEP_3)
	v_mul_lo_u32 v15, s9, v3
	v_mad_u64_u32 v[12:13], null, s8, v3, 0
	v_mul_lo_u32 v17, s8, v14
	s_delay_alu instid0(VALU_DEP_2) | instskip(NEXT) | instid1(VALU_DEP_2)
	v_sub_co_u32 v12, vcc_lo, v19, v12
	v_add3_u32 v13, v13, v17, v15
	s_delay_alu instid0(VALU_DEP_1) | instskip(NEXT) | instid1(VALU_DEP_1)
	v_sub_nc_u32_e32 v15, v22, v13
	v_subrev_co_ci_u32_e64 v15, s0, s9, v15, vcc_lo
	v_add_co_u32 v17, s0, v3, 2
	s_delay_alu instid0(VALU_DEP_1) | instskip(SKIP_3) | instid1(VALU_DEP_3)
	v_add_co_ci_u32_e64 v18, s0, 0, v14, s0
	v_sub_co_u32 v19, s0, v12, s8
	v_sub_co_ci_u32_e32 v13, vcc_lo, v22, v13, vcc_lo
	v_subrev_co_ci_u32_e64 v15, s0, 0, v15, s0
	v_cmp_le_u32_e32 vcc_lo, s8, v19
	s_delay_alu instid0(VALU_DEP_3) | instskip(SKIP_1) | instid1(VALU_DEP_4)
	v_cmp_eq_u32_e64 s0, s9, v13
	v_cndmask_b32_e64 v19, 0, -1, vcc_lo
	v_cmp_le_u32_e32 vcc_lo, s9, v15
	v_cndmask_b32_e64 v20, 0, -1, vcc_lo
	v_cmp_le_u32_e32 vcc_lo, s8, v12
	;; [unrolled: 2-line block ×3, first 2 shown]
	v_cndmask_b32_e64 v22, 0, -1, vcc_lo
	v_cmp_eq_u32_e32 vcc_lo, s9, v15
	s_delay_alu instid0(VALU_DEP_2) | instskip(SKIP_3) | instid1(VALU_DEP_3)
	v_cndmask_b32_e64 v12, v22, v12, s0
	v_cndmask_b32_e32 v15, v20, v19, vcc_lo
	v_add_co_u32 v19, vcc_lo, v3, 1
	v_add_co_ci_u32_e32 v20, vcc_lo, 0, v14, vcc_lo
	v_cmp_ne_u32_e32 vcc_lo, 0, v15
	s_delay_alu instid0(VALU_DEP_2) | instskip(NEXT) | instid1(VALU_DEP_4)
	v_cndmask_b32_e32 v13, v20, v18, vcc_lo
	v_cndmask_b32_e32 v15, v19, v17, vcc_lo
	v_cmp_ne_u32_e32 vcc_lo, 0, v12
	v_xor_b32_e32 v17, s6, v21
	s_delay_alu instid0(VALU_DEP_3) | instskip(NEXT) | instid1(VALU_DEP_1)
	v_dual_cndmask_b32 v3, v3, v15 :: v_dual_cndmask_b32 v12, v14, v13
                                        ; implicit-def: $vgpr14_vgpr15
	v_xor_b32_e32 v3, v3, v17
	s_delay_alu instid0(VALU_DEP_2) | instskip(NEXT) | instid1(VALU_DEP_2)
	v_xor_b32_e32 v13, v12, v17
	v_sub_co_u32 v12, vcc_lo, v3, v17
	s_delay_alu instid0(VALU_DEP_2)
	v_sub_co_ci_u32_e32 v13, vcc_lo, v13, v17, vcc_lo
.LBB6_11:                               ;   in Loop: Header=BB6_4 Depth=1
	s_and_not1_saveexec_b32 s0, s5
	s_cbranch_execz .LBB6_13
; %bb.12:                               ;   in Loop: Header=BB6_4 Depth=1
	v_cvt_f32_u32_e32 v3, s24
	s_sub_i32 s5, 0, s24
	s_delay_alu instid0(VALU_DEP_1) | instskip(SKIP_2) | instid1(VALU_DEP_1)
	v_rcp_iflag_f32_e32 v3, v3
	s_waitcnt_depctr 0xfff
	v_mul_f32_e32 v3, 0x4f7ffffe, v3
	v_cvt_u32_f32_e32 v3, v3
	s_delay_alu instid0(VALU_DEP_1) | instskip(NEXT) | instid1(VALU_DEP_1)
	v_mul_lo_u32 v12, s5, v3
	v_mul_hi_u32 v12, v3, v12
	s_delay_alu instid0(VALU_DEP_1) | instskip(NEXT) | instid1(VALU_DEP_1)
	v_add_nc_u32_e32 v3, v3, v12
	v_mul_hi_u32 v3, v14, v3
	s_delay_alu instid0(VALU_DEP_1) | instskip(SKIP_1) | instid1(VALU_DEP_2)
	v_mul_lo_u32 v12, v3, s24
	v_add_nc_u32_e32 v13, 1, v3
	v_sub_nc_u32_e32 v12, v14, v12
	s_delay_alu instid0(VALU_DEP_1) | instskip(SKIP_1) | instid1(VALU_DEP_2)
	v_subrev_nc_u32_e32 v14, s24, v12
	v_cmp_le_u32_e32 vcc_lo, s24, v12
	v_dual_cndmask_b32 v12, v12, v14 :: v_dual_cndmask_b32 v3, v3, v13
	s_delay_alu instid0(VALU_DEP_1) | instskip(NEXT) | instid1(VALU_DEP_2)
	v_cmp_le_u32_e32 vcc_lo, s24, v12
	v_add_nc_u32_e32 v13, 1, v3
	s_delay_alu instid0(VALU_DEP_1)
	v_dual_cndmask_b32 v12, v3, v13 :: v_dual_mov_b32 v13, v2
.LBB6_13:                               ;   in Loop: Header=BB6_4 Depth=1
	s_or_b32 exec_lo, exec_lo, s0
	s_delay_alu instid0(VALU_DEP_1) | instskip(SKIP_1) | instid1(VALU_DEP_1)
	v_or_b32_e32 v3, s23, v13
                                        ; implicit-def: $vgpr14_vgpr15
	s_mov_b32 s0, exec_lo
	v_cmpx_ne_u64_e32 0, v[2:3]
	s_xor_b32 s5, exec_lo, s0
	s_cbranch_execz .LBB6_15
; %bb.14:                               ;   in Loop: Header=BB6_4 Depth=1
	s_ashr_i32 s8, s23, 31
	s_delay_alu instid0(SALU_CYCLE_1) | instskip(SKIP_2) | instid1(SALU_CYCLE_1)
	s_add_u32 s10, s22, s8
	s_mov_b32 s9, s8
	s_addc_u32 s11, s23, s8
	s_xor_b64 s[10:11], s[10:11], s[8:9]
	s_delay_alu instid0(SALU_CYCLE_1) | instskip(SKIP_3) | instid1(VALU_DEP_1)
	v_cvt_f32_u32_e32 v3, s10
	v_cvt_f32_u32_e32 v14, s11
	s_sub_u32 s0, 0, s10
	s_subb_u32 s7, 0, s11
	v_fmac_f32_e32 v3, 0x4f800000, v14
	s_delay_alu instid0(VALU_DEP_1) | instskip(SKIP_2) | instid1(VALU_DEP_1)
	v_rcp_f32_e32 v3, v3
	s_waitcnt_depctr 0xfff
	v_mul_f32_e32 v3, 0x5f7ffffc, v3
	v_mul_f32_e32 v14, 0x2f800000, v3
	s_delay_alu instid0(VALU_DEP_1) | instskip(NEXT) | instid1(VALU_DEP_1)
	v_trunc_f32_e32 v14, v14
	v_fmac_f32_e32 v3, 0xcf800000, v14
	v_cvt_u32_f32_e32 v14, v14
	s_delay_alu instid0(VALU_DEP_2) | instskip(NEXT) | instid1(VALU_DEP_2)
	v_cvt_u32_f32_e32 v3, v3
	v_mul_lo_u32 v15, s0, v14
	s_delay_alu instid0(VALU_DEP_2) | instskip(SKIP_1) | instid1(VALU_DEP_2)
	v_mul_hi_u32 v17, s0, v3
	v_mul_lo_u32 v18, s7, v3
	v_add_nc_u32_e32 v15, v17, v15
	v_mul_lo_u32 v17, s0, v3
	s_delay_alu instid0(VALU_DEP_2) | instskip(NEXT) | instid1(VALU_DEP_2)
	v_add_nc_u32_e32 v15, v15, v18
	v_mul_hi_u32 v18, v3, v17
	s_delay_alu instid0(VALU_DEP_2)
	v_mul_lo_u32 v19, v3, v15
	v_mul_hi_u32 v20, v3, v15
	v_mul_hi_u32 v21, v14, v17
	v_mul_lo_u32 v17, v14, v17
	v_mul_hi_u32 v22, v14, v15
	v_mul_lo_u32 v15, v14, v15
	v_add_co_u32 v18, vcc_lo, v18, v19
	v_add_co_ci_u32_e32 v19, vcc_lo, 0, v20, vcc_lo
	s_delay_alu instid0(VALU_DEP_2) | instskip(NEXT) | instid1(VALU_DEP_2)
	v_add_co_u32 v17, vcc_lo, v18, v17
	v_add_co_ci_u32_e32 v17, vcc_lo, v19, v21, vcc_lo
	v_add_co_ci_u32_e32 v18, vcc_lo, 0, v22, vcc_lo
	v_ashrrev_i32_e32 v21, 31, v13
	s_delay_alu instid0(VALU_DEP_3) | instskip(NEXT) | instid1(VALU_DEP_3)
	v_add_co_u32 v15, vcc_lo, v17, v15
	v_add_co_ci_u32_e32 v17, vcc_lo, 0, v18, vcc_lo
	s_delay_alu instid0(VALU_DEP_2) | instskip(NEXT) | instid1(VALU_DEP_2)
	v_add_co_u32 v3, vcc_lo, v3, v15
	v_add_co_ci_u32_e32 v14, vcc_lo, v14, v17, vcc_lo
	s_delay_alu instid0(VALU_DEP_2) | instskip(SKIP_1) | instid1(VALU_DEP_3)
	v_mul_hi_u32 v15, s0, v3
	v_mul_lo_u32 v18, s7, v3
	v_mul_lo_u32 v17, s0, v14
	s_delay_alu instid0(VALU_DEP_1) | instskip(SKIP_1) | instid1(VALU_DEP_2)
	v_add_nc_u32_e32 v15, v15, v17
	v_mul_lo_u32 v17, s0, v3
	v_add_nc_u32_e32 v15, v15, v18
	s_delay_alu instid0(VALU_DEP_2) | instskip(NEXT) | instid1(VALU_DEP_2)
	v_mul_hi_u32 v18, v3, v17
	v_mul_lo_u32 v19, v3, v15
	v_mul_hi_u32 v20, v3, v15
	v_mul_hi_u32 v22, v14, v17
	v_mul_lo_u32 v17, v14, v17
	v_mul_hi_u32 v23, v14, v15
	v_mul_lo_u32 v15, v14, v15
	v_add_co_u32 v18, vcc_lo, v18, v19
	v_add_co_ci_u32_e32 v19, vcc_lo, 0, v20, vcc_lo
	s_delay_alu instid0(VALU_DEP_2) | instskip(NEXT) | instid1(VALU_DEP_2)
	v_add_co_u32 v17, vcc_lo, v18, v17
	v_add_co_ci_u32_e32 v17, vcc_lo, v19, v22, vcc_lo
	v_add_co_ci_u32_e32 v18, vcc_lo, 0, v23, vcc_lo
	v_add_co_u32 v19, vcc_lo, v12, v21
	v_add_co_ci_u32_e32 v13, vcc_lo, v13, v21, vcc_lo
	s_delay_alu instid0(VALU_DEP_4) | instskip(NEXT) | instid1(VALU_DEP_4)
	v_add_co_u32 v15, vcc_lo, v17, v15
	v_add_co_ci_u32_e32 v17, vcc_lo, 0, v18, vcc_lo
	s_delay_alu instid0(VALU_DEP_4) | instskip(NEXT) | instid1(VALU_DEP_3)
	v_xor_b32_e32 v22, v19, v21
	v_add_co_u32 v3, vcc_lo, v3, v15
	s_delay_alu instid0(VALU_DEP_3) | instskip(SKIP_1) | instid1(VALU_DEP_3)
	v_add_co_ci_u32_e32 v15, vcc_lo, v14, v17, vcc_lo
	v_xor_b32_e32 v23, v13, v21
	v_mul_hi_u32 v24, v22, v3
	s_delay_alu instid0(VALU_DEP_3) | instskip(NEXT) | instid1(VALU_DEP_3)
	v_mad_u64_u32 v[13:14], null, v22, v15, 0
	v_mad_u64_u32 v[17:18], null, v23, v3, 0
	;; [unrolled: 1-line block ×3, first 2 shown]
	s_delay_alu instid0(VALU_DEP_3) | instskip(NEXT) | instid1(VALU_DEP_4)
	v_add_co_u32 v3, vcc_lo, v24, v13
	v_add_co_ci_u32_e32 v13, vcc_lo, 0, v14, vcc_lo
	s_delay_alu instid0(VALU_DEP_2) | instskip(NEXT) | instid1(VALU_DEP_2)
	v_add_co_u32 v3, vcc_lo, v3, v17
	v_add_co_ci_u32_e32 v3, vcc_lo, v13, v18, vcc_lo
	v_add_co_ci_u32_e32 v13, vcc_lo, 0, v20, vcc_lo
	s_delay_alu instid0(VALU_DEP_2) | instskip(NEXT) | instid1(VALU_DEP_2)
	v_add_co_u32 v3, vcc_lo, v3, v19
	v_add_co_ci_u32_e32 v15, vcc_lo, 0, v13, vcc_lo
	s_delay_alu instid0(VALU_DEP_2) | instskip(SKIP_1) | instid1(VALU_DEP_3)
	v_mul_lo_u32 v17, s11, v3
	v_mad_u64_u32 v[13:14], null, s10, v3, 0
	v_mul_lo_u32 v15, s10, v15
	s_delay_alu instid0(VALU_DEP_2) | instskip(NEXT) | instid1(VALU_DEP_2)
	v_sub_co_u32 v13, vcc_lo, v22, v13
	v_add3_u32 v14, v14, v15, v17
	v_add_co_u32 v17, s0, v3, 2
	s_delay_alu instid0(VALU_DEP_2) | instskip(NEXT) | instid1(VALU_DEP_1)
	v_sub_nc_u32_e32 v15, v23, v14
	v_subrev_co_ci_u32_e64 v15, s0, s11, v15, vcc_lo
	v_sub_co_u32 v18, s0, v13, s10
	v_sub_co_ci_u32_e32 v14, vcc_lo, v23, v14, vcc_lo
	s_delay_alu instid0(VALU_DEP_3) | instskip(NEXT) | instid1(VALU_DEP_3)
	v_subrev_co_ci_u32_e64 v15, s0, 0, v15, s0
	v_cmp_le_u32_e32 vcc_lo, s10, v18
	v_cndmask_b32_e64 v18, 0, -1, vcc_lo
	s_delay_alu instid0(VALU_DEP_3)
	v_cmp_le_u32_e32 vcc_lo, s11, v15
	v_cndmask_b32_e64 v19, 0, -1, vcc_lo
	v_cmp_le_u32_e32 vcc_lo, s10, v13
	v_cndmask_b32_e64 v13, 0, -1, vcc_lo
	;; [unrolled: 2-line block ×3, first 2 shown]
	v_cmp_eq_u32_e32 vcc_lo, s11, v15
	v_cndmask_b32_e32 v15, v19, v18, vcc_lo
	v_add_co_u32 v18, vcc_lo, v3, 1
	v_cmp_eq_u32_e32 vcc_lo, s11, v14
	v_cndmask_b32_e32 v13, v20, v13, vcc_lo
	s_delay_alu instid0(VALU_DEP_4) | instskip(NEXT) | instid1(VALU_DEP_4)
	v_cmp_ne_u32_e32 vcc_lo, 0, v15
	v_cndmask_b32_e32 v14, v18, v17, vcc_lo
	s_delay_alu instid0(VALU_DEP_3) | instskip(SKIP_1) | instid1(VALU_DEP_3)
	v_cmp_ne_u32_e32 vcc_lo, 0, v13
	v_xor_b32_e32 v13, s8, v21
	v_cndmask_b32_e32 v3, v3, v14, vcc_lo
	s_delay_alu instid0(VALU_DEP_1) | instskip(NEXT) | instid1(VALU_DEP_1)
	v_xor_b32_e32 v3, v3, v13
	v_sub_co_u32 v14, vcc_lo, v3, v13
.LBB6_15:                               ;   in Loop: Header=BB6_4 Depth=1
	s_and_not1_saveexec_b32 s0, s5
	s_cbranch_execz .LBB6_2
; %bb.16:                               ;   in Loop: Header=BB6_4 Depth=1
	v_cvt_f32_u32_e32 v3, s22
	s_sub_i32 s5, 0, s22
	s_delay_alu instid0(VALU_DEP_1) | instskip(SKIP_2) | instid1(VALU_DEP_1)
	v_rcp_iflag_f32_e32 v3, v3
	s_waitcnt_depctr 0xfff
	v_mul_f32_e32 v3, 0x4f7ffffe, v3
	v_cvt_u32_f32_e32 v3, v3
	s_delay_alu instid0(VALU_DEP_1) | instskip(NEXT) | instid1(VALU_DEP_1)
	v_mul_lo_u32 v13, s5, v3
	v_mul_hi_u32 v13, v3, v13
	s_delay_alu instid0(VALU_DEP_1) | instskip(NEXT) | instid1(VALU_DEP_1)
	v_add_nc_u32_e32 v3, v3, v13
	v_mul_hi_u32 v3, v12, v3
	s_delay_alu instid0(VALU_DEP_1) | instskip(SKIP_1) | instid1(VALU_DEP_2)
	v_mul_lo_u32 v13, v3, s22
	v_add_nc_u32_e32 v14, 1, v3
	v_sub_nc_u32_e32 v13, v12, v13
	s_delay_alu instid0(VALU_DEP_1) | instskip(SKIP_1) | instid1(VALU_DEP_4)
	v_cmp_le_u32_e32 vcc_lo, s22, v13
	v_subrev_nc_u32_e32 v15, s22, v13
	v_cndmask_b32_e32 v3, v3, v14, vcc_lo
	s_delay_alu instid0(VALU_DEP_1) | instskip(NEXT) | instid1(VALU_DEP_3)
	v_add_nc_u32_e32 v14, 1, v3
	v_cndmask_b32_e32 v13, v13, v15, vcc_lo
	s_delay_alu instid0(VALU_DEP_1) | instskip(NEXT) | instid1(VALU_DEP_3)
	v_cmp_le_u32_e32 vcc_lo, s22, v13
	v_cndmask_b32_e32 v14, v3, v14, vcc_lo
	s_branch .LBB6_2
.LBB6_17:
	s_or_b32 exec_lo, exec_lo, s1
	s_and_saveexec_b32 s0, s14
	s_delay_alu instid0(SALU_CYCLE_1)
	s_xor_b32 s0, exec_lo, s0
	s_cbranch_execnz .LBB6_19
.LBB6_18:
	s_nop 0
	s_sendmsg sendmsg(MSG_DEALLOC_VGPRS)
	s_endpgm
.LBB6_19:
	s_cbranch_execnz .LBB6_21
; %bb.20:
	; divergent unreachable
	s_nop 0
	s_sendmsg sendmsg(MSG_DEALLOC_VGPRS)
	s_endpgm
.LBB6_21:
	s_trap 2
	s_sendmsg_rtn_b32 s0, sendmsg(MSG_RTN_GET_DOORBELL)
	s_mov_b32 ttmp2, m0
	s_waitcnt lgkmcnt(0)
	s_and_b32 s0, s0, 0x3ff
	s_delay_alu instid0(SALU_CYCLE_1) | instskip(NEXT) | instid1(SALU_CYCLE_1)
	s_bitset1_b32 s0, 10
	s_mov_b32 m0, s0
	s_sendmsg sendmsg(MSG_INTERRUPT)
	s_mov_b32 m0, ttmp2
.LBB6_22:                               ; =>This Inner Loop Header: Depth=1
	s_sethalt 5
	s_branch .LBB6_22
	.section	.rodata,"a",@progbits
	.p2align	6, 0x0
	.amdhsa_kernel _ZN2at6native30max_unpooling2d_forward_kernelIfEEvlPKT_PKllllllPS2_
		.amdhsa_group_segment_fixed_size 0
		.amdhsa_private_segment_fixed_size 0
		.amdhsa_kernarg_size 328
		.amdhsa_user_sgpr_count 15
		.amdhsa_user_sgpr_dispatch_ptr 0
		.amdhsa_user_sgpr_queue_ptr 0
		.amdhsa_user_sgpr_kernarg_segment_ptr 1
		.amdhsa_user_sgpr_dispatch_id 0
		.amdhsa_user_sgpr_private_segment_size 0
		.amdhsa_wavefront_size32 1
		.amdhsa_uses_dynamic_stack 0
		.amdhsa_enable_private_segment 0
		.amdhsa_system_sgpr_workgroup_id_x 1
		.amdhsa_system_sgpr_workgroup_id_y 0
		.amdhsa_system_sgpr_workgroup_id_z 0
		.amdhsa_system_sgpr_workgroup_info 0
		.amdhsa_system_vgpr_workitem_id 0
		.amdhsa_next_free_vgpr 25
		.amdhsa_next_free_sgpr 32
		.amdhsa_reserve_vcc 1
		.amdhsa_float_round_mode_32 0
		.amdhsa_float_round_mode_16_64 0
		.amdhsa_float_denorm_mode_32 3
		.amdhsa_float_denorm_mode_16_64 3
		.amdhsa_dx10_clamp 1
		.amdhsa_ieee_mode 1
		.amdhsa_fp16_overflow 0
		.amdhsa_workgroup_processor_mode 1
		.amdhsa_memory_ordered 1
		.amdhsa_forward_progress 0
		.amdhsa_shared_vgpr_count 0
		.amdhsa_exception_fp_ieee_invalid_op 0
		.amdhsa_exception_fp_denorm_src 0
		.amdhsa_exception_fp_ieee_div_zero 0
		.amdhsa_exception_fp_ieee_overflow 0
		.amdhsa_exception_fp_ieee_underflow 0
		.amdhsa_exception_fp_ieee_inexact 0
		.amdhsa_exception_int_div_zero 0
	.end_amdhsa_kernel
	.section	.text._ZN2at6native30max_unpooling2d_forward_kernelIfEEvlPKT_PKllllllPS2_,"axG",@progbits,_ZN2at6native30max_unpooling2d_forward_kernelIfEEvlPKT_PKllllllPS2_,comdat
.Lfunc_end6:
	.size	_ZN2at6native30max_unpooling2d_forward_kernelIfEEvlPKT_PKllllllPS2_, .Lfunc_end6-_ZN2at6native30max_unpooling2d_forward_kernelIfEEvlPKT_PKllllllPS2_
                                        ; -- End function
	.section	.AMDGPU.csdata,"",@progbits
; Kernel info:
; codeLenInByte = 3572
; NumSgprs: 34
; NumVgprs: 25
; ScratchSize: 0
; MemoryBound: 0
; FloatMode: 240
; IeeeMode: 1
; LDSByteSize: 0 bytes/workgroup (compile time only)
; SGPRBlocks: 4
; VGPRBlocks: 3
; NumSGPRsForWavesPerEU: 34
; NumVGPRsForWavesPerEU: 25
; Occupancy: 16
; WaveLimiterHint : 1
; COMPUTE_PGM_RSRC2:SCRATCH_EN: 0
; COMPUTE_PGM_RSRC2:USER_SGPR: 15
; COMPUTE_PGM_RSRC2:TRAP_HANDLER: 0
; COMPUTE_PGM_RSRC2:TGID_X_EN: 1
; COMPUTE_PGM_RSRC2:TGID_Y_EN: 0
; COMPUTE_PGM_RSRC2:TGID_Z_EN: 0
; COMPUTE_PGM_RSRC2:TIDIG_COMP_CNT: 0
	.section	.text._ZN2at6native30max_unpooling2d_forward_kernelIN3c104HalfEEEvlPKT_PKllllllPS4_,"axG",@progbits,_ZN2at6native30max_unpooling2d_forward_kernelIN3c104HalfEEEvlPKT_PKllllllPS4_,comdat
	.protected	_ZN2at6native30max_unpooling2d_forward_kernelIN3c104HalfEEEvlPKT_PKllllllPS4_ ; -- Begin function _ZN2at6native30max_unpooling2d_forward_kernelIN3c104HalfEEEvlPKT_PKllllllPS4_
	.globl	_ZN2at6native30max_unpooling2d_forward_kernelIN3c104HalfEEEvlPKT_PKllllllPS4_
	.p2align	8
	.type	_ZN2at6native30max_unpooling2d_forward_kernelIN3c104HalfEEEvlPKT_PKllllllPS4_,@function
_ZN2at6native30max_unpooling2d_forward_kernelIN3c104HalfEEEvlPKT_PKllllllPS4_: ; @_ZN2at6native30max_unpooling2d_forward_kernelIN3c104HalfEEEvlPKT_PKllllllPS4_
; %bb.0:
	s_clause 0x1
	s_load_b32 s4, s[0:1], 0x54
	s_load_b512 s[16:31], s[0:1], 0x0
	v_mov_b32_e32 v2, 0
	s_add_u32 s2, s0, 0x48
	s_addc_u32 s3, s1, 0
	s_mov_b32 s5, exec_lo
	s_delay_alu instid0(VALU_DEP_1)
	v_mov_b32_e32 v1, v2
	s_waitcnt lgkmcnt(0)
	s_and_b32 s4, s4, 0xffff
	s_delay_alu instid0(VALU_DEP_1) | instid1(SALU_CYCLE_1)
	v_mad_u64_u32 v[4:5], null, s4, s15, v[0:1]
	s_delay_alu instid0(VALU_DEP_1)
	v_cmpx_gt_i64_e64 s[16:17], v[4:5]
	s_cbranch_execz .LBB7_18
; %bb.1:
	v_cvt_f32_u32_e32 v0, s26
	s_load_b64 s[6:7], s[0:1], 0x40
	s_load_b32 s5, s[2:3], 0x0
	s_sub_i32 s0, 0, s26
	s_mul_hi_u32 s3, s30, s28
	v_rcp_iflag_f32_e32 v0, v0
	s_mul_i32 s8, s31, s28
	s_mul_i32 s2, s30, s28
	s_mov_b32 s1, 0
                                        ; implicit-def: $sgpr14
                                        ; implicit-def: $sgpr28
                                        ; implicit-def: $sgpr15
	s_waitcnt_depctr 0xfff
	v_dual_mov_b32 v3, v4 :: v_dual_mul_f32 v0, 0x4f7ffffe, v0
	s_delay_alu instid0(VALU_DEP_1)
	v_cvt_u32_f32_e32 v6, v0
	s_waitcnt lgkmcnt(0)
	s_mul_i32 s12, s5, s4
	s_ashr_i32 s4, s27, 31
	s_mov_b32 s13, s12
	v_mul_lo_u32 v0, s0, v6
	s_mul_i32 s0, s30, s29
	s_delay_alu instid0(SALU_CYCLE_1) | instskip(NEXT) | instid1(SALU_CYCLE_1)
	s_add_i32 s0, s3, s0
	s_add_i32 s3, s0, s8
	s_delay_alu instid0(VALU_DEP_1) | instskip(SKIP_2) | instid1(VALU_DEP_2)
	v_mul_hi_u32 v7, v6, v0
	v_dual_mov_b32 v0, s6 :: v_dual_mov_b32 v1, s7
	s_ashr_i32 s6, s25, 31
	v_dual_mov_b32 v7, v3 :: v_dual_add_nc_u32 v16, v6, v7
	v_mov_b32_e32 v6, v2
	s_branch .LBB7_4
.LBB7_2:                                ;   in Loop: Header=BB7_4 Depth=1
	s_or_b32 exec_lo, exec_lo, s0
	v_lshlrev_b64 v[10:11], 1, v[10:11]
	s_delay_alu instid0(VALU_DEP_2) | instskip(SKIP_2) | instid1(VALU_DEP_1)
	v_ashrrev_i32_e32 v15, 31, v14
	v_lshlrev_b64 v[8:9], 1, v[8:9]
	v_add_co_u32 v6, s0, v6, 0
	v_add_co_ci_u32_e64 v7, s0, s13, v7, s0
	v_add_co_u32 v10, vcc_lo, s18, v10
	v_add_co_ci_u32_e32 v11, vcc_lo, s19, v11, vcc_lo
	s_and_not1_b32 s0, s28, exec_lo
	s_and_not1_b32 s15, s15, exec_lo
	global_load_u16 v3, v[10:11], off
	v_mul_lo_u32 v10, v14, s22
	s_delay_alu instid0(VALU_DEP_1) | instskip(NEXT) | instid1(VALU_DEP_1)
	v_sub_nc_u32_e32 v10, v12, v10
	v_ashrrev_i32_e32 v11, 31, v10
	s_delay_alu instid0(VALU_DEP_1) | instskip(SKIP_2) | instid1(VALU_DEP_1)
	v_mad_u64_u32 v[12:13], null, v14, s22, v[10:11]
	v_mul_lo_u32 v10, v14, s23
	v_mul_lo_u32 v11, v15, s22
	v_add3_u32 v10, v11, v13, v10
	s_delay_alu instid0(VALU_DEP_4) | instskip(NEXT) | instid1(VALU_DEP_2)
	v_mul_lo_u32 v13, s3, v12
	v_mul_lo_u32 v14, s2, v10
	v_mad_u64_u32 v[10:11], null, s2, v12, 0
	s_delay_alu instid0(VALU_DEP_1) | instskip(NEXT) | instid1(VALU_DEP_1)
	v_add3_u32 v11, v11, v14, v13
	v_lshlrev_b64 v[10:11], 1, v[10:11]
	s_delay_alu instid0(VALU_DEP_1) | instskip(NEXT) | instid1(VALU_DEP_2)
	v_add_co_u32 v0, vcc_lo, v0, v10
	v_add_co_ci_u32_e32 v1, vcc_lo, v1, v11, vcc_lo
	v_add_co_u32 v4, vcc_lo, v4, s12
	v_add_co_ci_u32_e32 v5, vcc_lo, 0, v5, vcc_lo
	s_delay_alu instid0(VALU_DEP_4) | instskip(NEXT) | instid1(VALU_DEP_4)
	v_add_co_u32 v8, vcc_lo, v0, v8
	v_add_co_ci_u32_e32 v9, vcc_lo, v1, v9, vcc_lo
	s_delay_alu instid0(VALU_DEP_3) | instskip(SKIP_1) | instid1(SALU_CYCLE_1)
	v_cmp_le_i64_e32 vcc_lo, s[16:17], v[4:5]
	s_and_b32 s5, vcc_lo, exec_lo
	s_or_b32 s28, s0, s5
	s_waitcnt vmcnt(0)
	global_store_b16 v[8:9], v3, off
.LBB7_3:                                ;   in Loop: Header=BB7_4 Depth=1
	s_or_b32 exec_lo, exec_lo, s29
	s_delay_alu instid0(SALU_CYCLE_1) | instskip(NEXT) | instid1(SALU_CYCLE_1)
	s_and_b32 s0, exec_lo, s28
	s_or_b32 s1, s0, s1
	s_and_not1_b32 s0, s14, exec_lo
	s_and_b32 s5, s15, exec_lo
	s_delay_alu instid0(SALU_CYCLE_1)
	s_or_b32 s14, s0, s5
	s_and_not1_b32 exec_lo, exec_lo, s1
	s_cbranch_execz .LBB7_17
.LBB7_4:                                ; =>This Inner Loop Header: Depth=1
	s_delay_alu instid0(VALU_DEP_1) | instskip(SKIP_2) | instid1(VALU_DEP_1)
	v_ashrrev_i64 v[8:9], 29, v[6:7]
	s_or_b32 s15, s15, exec_lo
	s_or_b32 s28, s28, exec_lo
	v_add_co_u32 v8, vcc_lo, s20, v8
	s_delay_alu instid0(VALU_DEP_2) | instskip(SKIP_4) | instid1(VALU_DEP_2)
	v_add_co_ci_u32_e32 v9, vcc_lo, s21, v9, vcc_lo
	global_load_b64 v[8:9], v[8:9], off
	s_waitcnt vmcnt(0)
	v_ashrrev_i32_e32 v9, 31, v8
	v_cmp_lt_i32_e64 s0, -1, v8
	v_cmp_gt_i64_e32 vcc_lo, s[2:3], v[8:9]
	s_delay_alu instid0(VALU_DEP_2) | instskip(NEXT) | instid1(SALU_CYCLE_1)
	s_and_b32 s0, s0, vcc_lo
	s_and_saveexec_b32 s29, s0
	s_cbranch_execz .LBB7_3
; %bb.5:                                ;   in Loop: Header=BB7_4 Depth=1
	v_ashrrev_i32_e32 v11, 31, v7
	v_mov_b32_e32 v10, v7
                                        ; implicit-def: $vgpr14_vgpr15
	s_mov_b32 s0, exec_lo
	s_delay_alu instid0(VALU_DEP_2) | instskip(NEXT) | instid1(VALU_DEP_1)
	v_or_b32_e32 v3, s27, v11
	v_cmpx_ne_u64_e32 0, v[2:3]
	s_xor_b32 s7, exec_lo, s0
	s_cbranch_execz .LBB7_7
; %bb.6:                                ;   in Loop: Header=BB7_4 Depth=1
	s_add_u32 s8, s26, s4
	s_mov_b32 s5, s4
	s_addc_u32 s9, s27, s4
	s_delay_alu instid0(SALU_CYCLE_1) | instskip(NEXT) | instid1(SALU_CYCLE_1)
	s_xor_b64 s[8:9], s[8:9], s[4:5]
	v_cvt_f32_u32_e32 v3, s8
	v_cvt_f32_u32_e32 v12, s9
	s_sub_u32 s0, 0, s8
	s_subb_u32 s5, 0, s9
	s_delay_alu instid0(VALU_DEP_1) | instskip(NEXT) | instid1(VALU_DEP_1)
	v_fmac_f32_e32 v3, 0x4f800000, v12
	v_rcp_f32_e32 v3, v3
	s_waitcnt_depctr 0xfff
	v_mul_f32_e32 v3, 0x5f7ffffc, v3
	s_delay_alu instid0(VALU_DEP_1) | instskip(NEXT) | instid1(VALU_DEP_1)
	v_mul_f32_e32 v12, 0x2f800000, v3
	v_trunc_f32_e32 v12, v12
	s_delay_alu instid0(VALU_DEP_1) | instskip(SKIP_1) | instid1(VALU_DEP_2)
	v_fmac_f32_e32 v3, 0xcf800000, v12
	v_cvt_u32_f32_e32 v12, v12
	v_cvt_u32_f32_e32 v3, v3
	s_delay_alu instid0(VALU_DEP_2) | instskip(NEXT) | instid1(VALU_DEP_2)
	v_mul_lo_u32 v13, s0, v12
	v_mul_hi_u32 v14, s0, v3
	v_mul_lo_u32 v15, s5, v3
	s_delay_alu instid0(VALU_DEP_2) | instskip(SKIP_1) | instid1(VALU_DEP_2)
	v_add_nc_u32_e32 v13, v14, v13
	v_mul_lo_u32 v14, s0, v3
	v_add_nc_u32_e32 v13, v13, v15
	s_delay_alu instid0(VALU_DEP_2) | instskip(NEXT) | instid1(VALU_DEP_2)
	v_mul_hi_u32 v15, v3, v14
	v_mul_lo_u32 v17, v3, v13
	v_mul_hi_u32 v18, v3, v13
	v_mul_hi_u32 v19, v12, v14
	v_mul_lo_u32 v14, v12, v14
	v_mul_hi_u32 v20, v12, v13
	v_mul_lo_u32 v13, v12, v13
	v_add_co_u32 v15, vcc_lo, v15, v17
	v_add_co_ci_u32_e32 v17, vcc_lo, 0, v18, vcc_lo
	s_delay_alu instid0(VALU_DEP_2) | instskip(NEXT) | instid1(VALU_DEP_2)
	v_add_co_u32 v14, vcc_lo, v15, v14
	v_add_co_ci_u32_e32 v14, vcc_lo, v17, v19, vcc_lo
	v_add_co_ci_u32_e32 v15, vcc_lo, 0, v20, vcc_lo
	v_ashrrev_i32_e32 v19, 31, v11
	s_delay_alu instid0(VALU_DEP_3) | instskip(NEXT) | instid1(VALU_DEP_3)
	v_add_co_u32 v13, vcc_lo, v14, v13
	v_add_co_ci_u32_e32 v14, vcc_lo, 0, v15, vcc_lo
	s_delay_alu instid0(VALU_DEP_2) | instskip(NEXT) | instid1(VALU_DEP_2)
	v_add_co_u32 v3, vcc_lo, v3, v13
	v_add_co_ci_u32_e32 v12, vcc_lo, v12, v14, vcc_lo
	s_delay_alu instid0(VALU_DEP_2) | instskip(SKIP_1) | instid1(VALU_DEP_3)
	v_mul_hi_u32 v13, s0, v3
	v_mul_lo_u32 v15, s5, v3
	v_mul_lo_u32 v14, s0, v12
	s_delay_alu instid0(VALU_DEP_1) | instskip(SKIP_1) | instid1(VALU_DEP_2)
	v_add_nc_u32_e32 v13, v13, v14
	v_mul_lo_u32 v14, s0, v3
	v_add_nc_u32_e32 v13, v13, v15
	s_delay_alu instid0(VALU_DEP_2) | instskip(NEXT) | instid1(VALU_DEP_2)
	v_mul_hi_u32 v15, v3, v14
	v_mul_lo_u32 v17, v3, v13
	v_mul_hi_u32 v18, v3, v13
	v_mul_hi_u32 v20, v12, v14
	v_mul_lo_u32 v14, v12, v14
	v_mul_hi_u32 v21, v12, v13
	v_mul_lo_u32 v13, v12, v13
	v_add_co_u32 v15, vcc_lo, v15, v17
	v_add_co_ci_u32_e32 v17, vcc_lo, 0, v18, vcc_lo
	s_delay_alu instid0(VALU_DEP_2) | instskip(NEXT) | instid1(VALU_DEP_2)
	v_add_co_u32 v14, vcc_lo, v15, v14
	v_add_co_ci_u32_e32 v14, vcc_lo, v17, v20, vcc_lo
	v_add_co_ci_u32_e32 v15, vcc_lo, 0, v21, vcc_lo
	v_add_co_u32 v17, vcc_lo, v10, v19
	v_add_co_ci_u32_e32 v18, vcc_lo, v11, v19, vcc_lo
	s_delay_alu instid0(VALU_DEP_4) | instskip(NEXT) | instid1(VALU_DEP_4)
	v_add_co_u32 v13, vcc_lo, v14, v13
	v_add_co_ci_u32_e32 v14, vcc_lo, 0, v15, vcc_lo
	s_delay_alu instid0(VALU_DEP_4) | instskip(NEXT) | instid1(VALU_DEP_3)
	v_xor_b32_e32 v20, v17, v19
	v_add_co_u32 v3, vcc_lo, v3, v13
	s_delay_alu instid0(VALU_DEP_3) | instskip(SKIP_1) | instid1(VALU_DEP_3)
	v_add_co_ci_u32_e32 v21, vcc_lo, v12, v14, vcc_lo
	v_xor_b32_e32 v22, v18, v19
	v_mul_hi_u32 v23, v20, v3
	s_delay_alu instid0(VALU_DEP_3) | instskip(NEXT) | instid1(VALU_DEP_3)
	v_mad_u64_u32 v[12:13], null, v20, v21, 0
	v_mad_u64_u32 v[14:15], null, v22, v3, 0
	;; [unrolled: 1-line block ×3, first 2 shown]
	s_delay_alu instid0(VALU_DEP_3) | instskip(NEXT) | instid1(VALU_DEP_4)
	v_add_co_u32 v3, vcc_lo, v23, v12
	v_add_co_ci_u32_e32 v12, vcc_lo, 0, v13, vcc_lo
	s_delay_alu instid0(VALU_DEP_2) | instskip(NEXT) | instid1(VALU_DEP_2)
	v_add_co_u32 v3, vcc_lo, v3, v14
	v_add_co_ci_u32_e32 v3, vcc_lo, v12, v15, vcc_lo
	v_add_co_ci_u32_e32 v12, vcc_lo, 0, v18, vcc_lo
	s_delay_alu instid0(VALU_DEP_2) | instskip(NEXT) | instid1(VALU_DEP_2)
	v_add_co_u32 v3, vcc_lo, v3, v17
	v_add_co_ci_u32_e32 v14, vcc_lo, 0, v12, vcc_lo
	s_delay_alu instid0(VALU_DEP_2) | instskip(SKIP_1) | instid1(VALU_DEP_3)
	v_mul_lo_u32 v15, s9, v3
	v_mad_u64_u32 v[12:13], null, s8, v3, 0
	v_mul_lo_u32 v17, s8, v14
	s_delay_alu instid0(VALU_DEP_2) | instskip(NEXT) | instid1(VALU_DEP_2)
	v_sub_co_u32 v12, vcc_lo, v20, v12
	v_add3_u32 v13, v13, v17, v15
	s_delay_alu instid0(VALU_DEP_1) | instskip(NEXT) | instid1(VALU_DEP_1)
	v_sub_nc_u32_e32 v15, v22, v13
	v_subrev_co_ci_u32_e64 v15, s0, s9, v15, vcc_lo
	v_add_co_u32 v17, s0, v3, 2
	s_delay_alu instid0(VALU_DEP_1) | instskip(SKIP_3) | instid1(VALU_DEP_3)
	v_add_co_ci_u32_e64 v18, s0, 0, v14, s0
	v_sub_co_u32 v20, s0, v12, s8
	v_sub_co_ci_u32_e32 v13, vcc_lo, v22, v13, vcc_lo
	v_subrev_co_ci_u32_e64 v15, s0, 0, v15, s0
	v_cmp_le_u32_e32 vcc_lo, s8, v20
	s_delay_alu instid0(VALU_DEP_3) | instskip(SKIP_1) | instid1(VALU_DEP_4)
	v_cmp_eq_u32_e64 s0, s9, v13
	v_cndmask_b32_e64 v20, 0, -1, vcc_lo
	v_cmp_le_u32_e32 vcc_lo, s9, v15
	v_cndmask_b32_e64 v21, 0, -1, vcc_lo
	v_cmp_le_u32_e32 vcc_lo, s8, v12
	;; [unrolled: 2-line block ×3, first 2 shown]
	v_cndmask_b32_e64 v22, 0, -1, vcc_lo
	v_cmp_eq_u32_e32 vcc_lo, s9, v15
	s_delay_alu instid0(VALU_DEP_2) | instskip(SKIP_3) | instid1(VALU_DEP_3)
	v_cndmask_b32_e64 v12, v22, v12, s0
	v_cndmask_b32_e32 v15, v21, v20, vcc_lo
	v_add_co_u32 v20, vcc_lo, v3, 1
	v_add_co_ci_u32_e32 v21, vcc_lo, 0, v14, vcc_lo
	v_cmp_ne_u32_e32 vcc_lo, 0, v15
	s_delay_alu instid0(VALU_DEP_2) | instskip(NEXT) | instid1(VALU_DEP_4)
	v_cndmask_b32_e32 v13, v21, v18, vcc_lo
	v_cndmask_b32_e32 v15, v20, v17, vcc_lo
	v_cmp_ne_u32_e32 vcc_lo, 0, v12
	v_xor_b32_e32 v12, s4, v19
	s_delay_alu instid0(VALU_DEP_3) | instskip(SKIP_1) | instid1(VALU_DEP_2)
	v_cndmask_b32_e32 v3, v3, v15, vcc_lo
	v_cndmask_b32_e32 v13, v14, v13, vcc_lo
	v_xor_b32_e32 v3, v3, v12
	s_delay_alu instid0(VALU_DEP_2) | instskip(NEXT) | instid1(VALU_DEP_2)
	v_xor_b32_e32 v13, v13, v12
	v_sub_co_u32 v14, vcc_lo, v3, v12
	s_delay_alu instid0(VALU_DEP_2)
	v_sub_co_ci_u32_e32 v15, vcc_lo, v13, v12, vcc_lo
.LBB7_7:                                ;   in Loop: Header=BB7_4 Depth=1
	s_and_not1_saveexec_b32 s0, s7
; %bb.8:                                ;   in Loop: Header=BB7_4 Depth=1
	v_mul_hi_u32 v3, v7, v16
	v_mov_b32_e32 v15, v2
	s_delay_alu instid0(VALU_DEP_2) | instskip(NEXT) | instid1(VALU_DEP_1)
	v_mul_lo_u32 v12, v3, s26
	v_sub_nc_u32_e32 v12, v7, v12
	s_delay_alu instid0(VALU_DEP_1) | instskip(SKIP_1) | instid1(VALU_DEP_2)
	v_subrev_nc_u32_e32 v14, s26, v12
	v_cmp_le_u32_e32 vcc_lo, s26, v12
	v_dual_cndmask_b32 v12, v12, v14 :: v_dual_add_nc_u32 v13, 1, v3
	s_delay_alu instid0(VALU_DEP_1) | instskip(NEXT) | instid1(VALU_DEP_2)
	v_cndmask_b32_e32 v3, v3, v13, vcc_lo
	v_cmp_le_u32_e32 vcc_lo, s26, v12
	s_delay_alu instid0(VALU_DEP_2) | instskip(NEXT) | instid1(VALU_DEP_1)
	v_add_nc_u32_e32 v13, 1, v3
	v_cndmask_b32_e32 v14, v3, v13, vcc_lo
; %bb.9:                                ;   in Loop: Header=BB7_4 Depth=1
	s_or_b32 exec_lo, exec_lo, s0
	v_or_b32_e32 v3, s25, v15
                                        ; implicit-def: $vgpr12_vgpr13
	s_mov_b32 s0, exec_lo
	s_delay_alu instid0(VALU_DEP_1)
	v_cmpx_ne_u64_e32 0, v[2:3]
	s_xor_b32 s5, exec_lo, s0
	s_cbranch_execz .LBB7_11
; %bb.10:                               ;   in Loop: Header=BB7_4 Depth=1
	s_add_u32 s8, s24, s6
	s_mov_b32 s7, s6
	s_addc_u32 s9, s25, s6
	s_delay_alu instid0(SALU_CYCLE_1) | instskip(NEXT) | instid1(SALU_CYCLE_1)
	s_xor_b64 s[8:9], s[8:9], s[6:7]
	v_cvt_f32_u32_e32 v3, s8
	v_cvt_f32_u32_e32 v12, s9
	s_sub_u32 s0, 0, s8
	s_subb_u32 s7, 0, s9
	s_delay_alu instid0(VALU_DEP_1) | instskip(NEXT) | instid1(VALU_DEP_1)
	v_fmac_f32_e32 v3, 0x4f800000, v12
	v_rcp_f32_e32 v3, v3
	s_waitcnt_depctr 0xfff
	v_mul_f32_e32 v3, 0x5f7ffffc, v3
	s_delay_alu instid0(VALU_DEP_1) | instskip(NEXT) | instid1(VALU_DEP_1)
	v_mul_f32_e32 v12, 0x2f800000, v3
	v_trunc_f32_e32 v12, v12
	s_delay_alu instid0(VALU_DEP_1) | instskip(SKIP_1) | instid1(VALU_DEP_2)
	v_fmac_f32_e32 v3, 0xcf800000, v12
	v_cvt_u32_f32_e32 v12, v12
	v_cvt_u32_f32_e32 v3, v3
	s_delay_alu instid0(VALU_DEP_2) | instskip(NEXT) | instid1(VALU_DEP_2)
	v_mul_lo_u32 v13, s0, v12
	v_mul_hi_u32 v17, s0, v3
	v_mul_lo_u32 v18, s7, v3
	s_delay_alu instid0(VALU_DEP_2) | instskip(SKIP_1) | instid1(VALU_DEP_2)
	v_add_nc_u32_e32 v13, v17, v13
	v_mul_lo_u32 v17, s0, v3
	v_add_nc_u32_e32 v13, v13, v18
	s_delay_alu instid0(VALU_DEP_2) | instskip(NEXT) | instid1(VALU_DEP_2)
	v_mul_hi_u32 v18, v3, v17
	v_mul_lo_u32 v19, v3, v13
	v_mul_hi_u32 v20, v3, v13
	v_mul_hi_u32 v21, v12, v17
	v_mul_lo_u32 v17, v12, v17
	v_mul_hi_u32 v22, v12, v13
	v_mul_lo_u32 v13, v12, v13
	v_add_co_u32 v18, vcc_lo, v18, v19
	v_add_co_ci_u32_e32 v19, vcc_lo, 0, v20, vcc_lo
	s_delay_alu instid0(VALU_DEP_2) | instskip(NEXT) | instid1(VALU_DEP_2)
	v_add_co_u32 v17, vcc_lo, v18, v17
	v_add_co_ci_u32_e32 v17, vcc_lo, v19, v21, vcc_lo
	v_add_co_ci_u32_e32 v18, vcc_lo, 0, v22, vcc_lo
	v_ashrrev_i32_e32 v21, 31, v15
	s_delay_alu instid0(VALU_DEP_3) | instskip(NEXT) | instid1(VALU_DEP_3)
	v_add_co_u32 v13, vcc_lo, v17, v13
	v_add_co_ci_u32_e32 v17, vcc_lo, 0, v18, vcc_lo
	s_delay_alu instid0(VALU_DEP_2) | instskip(NEXT) | instid1(VALU_DEP_2)
	v_add_co_u32 v3, vcc_lo, v3, v13
	v_add_co_ci_u32_e32 v12, vcc_lo, v12, v17, vcc_lo
	s_delay_alu instid0(VALU_DEP_2) | instskip(SKIP_1) | instid1(VALU_DEP_3)
	v_mul_hi_u32 v13, s0, v3
	v_mul_lo_u32 v18, s7, v3
	v_mul_lo_u32 v17, s0, v12
	s_delay_alu instid0(VALU_DEP_1) | instskip(SKIP_1) | instid1(VALU_DEP_2)
	v_add_nc_u32_e32 v13, v13, v17
	v_mul_lo_u32 v17, s0, v3
	v_add_nc_u32_e32 v13, v13, v18
	s_delay_alu instid0(VALU_DEP_2) | instskip(NEXT) | instid1(VALU_DEP_2)
	v_mul_hi_u32 v18, v3, v17
	v_mul_lo_u32 v19, v3, v13
	v_mul_hi_u32 v20, v3, v13
	v_mul_hi_u32 v22, v12, v17
	v_mul_lo_u32 v17, v12, v17
	v_mul_hi_u32 v23, v12, v13
	v_mul_lo_u32 v13, v12, v13
	v_add_co_u32 v18, vcc_lo, v18, v19
	v_add_co_ci_u32_e32 v19, vcc_lo, 0, v20, vcc_lo
	s_delay_alu instid0(VALU_DEP_2) | instskip(NEXT) | instid1(VALU_DEP_2)
	v_add_co_u32 v17, vcc_lo, v18, v17
	v_add_co_ci_u32_e32 v17, vcc_lo, v19, v22, vcc_lo
	v_add_co_ci_u32_e32 v18, vcc_lo, 0, v23, vcc_lo
	v_add_co_u32 v14, vcc_lo, v14, v21
	v_add_co_ci_u32_e32 v15, vcc_lo, v15, v21, vcc_lo
	s_delay_alu instid0(VALU_DEP_4) | instskip(NEXT) | instid1(VALU_DEP_4)
	v_add_co_u32 v13, vcc_lo, v17, v13
	v_add_co_ci_u32_e32 v17, vcc_lo, 0, v18, vcc_lo
	s_delay_alu instid0(VALU_DEP_4) | instskip(NEXT) | instid1(VALU_DEP_3)
	v_xor_b32_e32 v19, v14, v21
	v_add_co_u32 v3, vcc_lo, v3, v13
	s_delay_alu instid0(VALU_DEP_3) | instskip(SKIP_1) | instid1(VALU_DEP_3)
	v_add_co_ci_u32_e32 v20, vcc_lo, v12, v17, vcc_lo
	v_xor_b32_e32 v22, v15, v21
	v_mul_hi_u32 v23, v19, v3
	s_delay_alu instid0(VALU_DEP_3) | instskip(NEXT) | instid1(VALU_DEP_3)
	v_mad_u64_u32 v[12:13], null, v19, v20, 0
	v_mad_u64_u32 v[14:15], null, v22, v3, 0
	;; [unrolled: 1-line block ×3, first 2 shown]
	s_delay_alu instid0(VALU_DEP_3) | instskip(NEXT) | instid1(VALU_DEP_4)
	v_add_co_u32 v3, vcc_lo, v23, v12
	v_add_co_ci_u32_e32 v12, vcc_lo, 0, v13, vcc_lo
	s_delay_alu instid0(VALU_DEP_2) | instskip(NEXT) | instid1(VALU_DEP_2)
	v_add_co_u32 v3, vcc_lo, v3, v14
	v_add_co_ci_u32_e32 v3, vcc_lo, v12, v15, vcc_lo
	v_add_co_ci_u32_e32 v12, vcc_lo, 0, v18, vcc_lo
	s_delay_alu instid0(VALU_DEP_2) | instskip(NEXT) | instid1(VALU_DEP_2)
	v_add_co_u32 v3, vcc_lo, v3, v17
	v_add_co_ci_u32_e32 v14, vcc_lo, 0, v12, vcc_lo
	s_delay_alu instid0(VALU_DEP_2) | instskip(SKIP_1) | instid1(VALU_DEP_3)
	v_mul_lo_u32 v15, s9, v3
	v_mad_u64_u32 v[12:13], null, s8, v3, 0
	v_mul_lo_u32 v17, s8, v14
	s_delay_alu instid0(VALU_DEP_2) | instskip(NEXT) | instid1(VALU_DEP_2)
	v_sub_co_u32 v12, vcc_lo, v19, v12
	v_add3_u32 v13, v13, v17, v15
	s_delay_alu instid0(VALU_DEP_1) | instskip(NEXT) | instid1(VALU_DEP_1)
	v_sub_nc_u32_e32 v15, v22, v13
	v_subrev_co_ci_u32_e64 v15, s0, s9, v15, vcc_lo
	v_add_co_u32 v17, s0, v3, 2
	s_delay_alu instid0(VALU_DEP_1) | instskip(SKIP_3) | instid1(VALU_DEP_3)
	v_add_co_ci_u32_e64 v18, s0, 0, v14, s0
	v_sub_co_u32 v19, s0, v12, s8
	v_sub_co_ci_u32_e32 v13, vcc_lo, v22, v13, vcc_lo
	v_subrev_co_ci_u32_e64 v15, s0, 0, v15, s0
	v_cmp_le_u32_e32 vcc_lo, s8, v19
	s_delay_alu instid0(VALU_DEP_3) | instskip(SKIP_1) | instid1(VALU_DEP_4)
	v_cmp_eq_u32_e64 s0, s9, v13
	v_cndmask_b32_e64 v19, 0, -1, vcc_lo
	v_cmp_le_u32_e32 vcc_lo, s9, v15
	v_cndmask_b32_e64 v20, 0, -1, vcc_lo
	v_cmp_le_u32_e32 vcc_lo, s8, v12
	;; [unrolled: 2-line block ×3, first 2 shown]
	v_cndmask_b32_e64 v22, 0, -1, vcc_lo
	v_cmp_eq_u32_e32 vcc_lo, s9, v15
	s_delay_alu instid0(VALU_DEP_2) | instskip(SKIP_3) | instid1(VALU_DEP_3)
	v_cndmask_b32_e64 v12, v22, v12, s0
	v_cndmask_b32_e32 v15, v20, v19, vcc_lo
	v_add_co_u32 v19, vcc_lo, v3, 1
	v_add_co_ci_u32_e32 v20, vcc_lo, 0, v14, vcc_lo
	v_cmp_ne_u32_e32 vcc_lo, 0, v15
	s_delay_alu instid0(VALU_DEP_2) | instskip(NEXT) | instid1(VALU_DEP_4)
	v_cndmask_b32_e32 v13, v20, v18, vcc_lo
	v_cndmask_b32_e32 v15, v19, v17, vcc_lo
	v_cmp_ne_u32_e32 vcc_lo, 0, v12
	v_xor_b32_e32 v17, s6, v21
	s_delay_alu instid0(VALU_DEP_3) | instskip(NEXT) | instid1(VALU_DEP_1)
	v_dual_cndmask_b32 v3, v3, v15 :: v_dual_cndmask_b32 v12, v14, v13
                                        ; implicit-def: $vgpr14_vgpr15
	v_xor_b32_e32 v3, v3, v17
	s_delay_alu instid0(VALU_DEP_2) | instskip(NEXT) | instid1(VALU_DEP_2)
	v_xor_b32_e32 v13, v12, v17
	v_sub_co_u32 v12, vcc_lo, v3, v17
	s_delay_alu instid0(VALU_DEP_2)
	v_sub_co_ci_u32_e32 v13, vcc_lo, v13, v17, vcc_lo
.LBB7_11:                               ;   in Loop: Header=BB7_4 Depth=1
	s_and_not1_saveexec_b32 s0, s5
	s_cbranch_execz .LBB7_13
; %bb.12:                               ;   in Loop: Header=BB7_4 Depth=1
	v_cvt_f32_u32_e32 v3, s24
	s_sub_i32 s5, 0, s24
	s_delay_alu instid0(VALU_DEP_1) | instskip(SKIP_2) | instid1(VALU_DEP_1)
	v_rcp_iflag_f32_e32 v3, v3
	s_waitcnt_depctr 0xfff
	v_mul_f32_e32 v3, 0x4f7ffffe, v3
	v_cvt_u32_f32_e32 v3, v3
	s_delay_alu instid0(VALU_DEP_1) | instskip(NEXT) | instid1(VALU_DEP_1)
	v_mul_lo_u32 v12, s5, v3
	v_mul_hi_u32 v12, v3, v12
	s_delay_alu instid0(VALU_DEP_1) | instskip(NEXT) | instid1(VALU_DEP_1)
	v_add_nc_u32_e32 v3, v3, v12
	v_mul_hi_u32 v3, v14, v3
	s_delay_alu instid0(VALU_DEP_1) | instskip(SKIP_1) | instid1(VALU_DEP_2)
	v_mul_lo_u32 v12, v3, s24
	v_add_nc_u32_e32 v13, 1, v3
	v_sub_nc_u32_e32 v12, v14, v12
	s_delay_alu instid0(VALU_DEP_1) | instskip(SKIP_1) | instid1(VALU_DEP_2)
	v_subrev_nc_u32_e32 v14, s24, v12
	v_cmp_le_u32_e32 vcc_lo, s24, v12
	v_dual_cndmask_b32 v12, v12, v14 :: v_dual_cndmask_b32 v3, v3, v13
	s_delay_alu instid0(VALU_DEP_1) | instskip(NEXT) | instid1(VALU_DEP_2)
	v_cmp_le_u32_e32 vcc_lo, s24, v12
	v_add_nc_u32_e32 v13, 1, v3
	s_delay_alu instid0(VALU_DEP_1)
	v_dual_cndmask_b32 v12, v3, v13 :: v_dual_mov_b32 v13, v2
.LBB7_13:                               ;   in Loop: Header=BB7_4 Depth=1
	s_or_b32 exec_lo, exec_lo, s0
	s_delay_alu instid0(VALU_DEP_1) | instskip(SKIP_1) | instid1(VALU_DEP_1)
	v_or_b32_e32 v3, s23, v13
                                        ; implicit-def: $vgpr14_vgpr15
	s_mov_b32 s0, exec_lo
	v_cmpx_ne_u64_e32 0, v[2:3]
	s_xor_b32 s5, exec_lo, s0
	s_cbranch_execz .LBB7_15
; %bb.14:                               ;   in Loop: Header=BB7_4 Depth=1
	s_ashr_i32 s8, s23, 31
	s_delay_alu instid0(SALU_CYCLE_1) | instskip(SKIP_2) | instid1(SALU_CYCLE_1)
	s_add_u32 s10, s22, s8
	s_mov_b32 s9, s8
	s_addc_u32 s11, s23, s8
	s_xor_b64 s[10:11], s[10:11], s[8:9]
	s_delay_alu instid0(SALU_CYCLE_1) | instskip(SKIP_3) | instid1(VALU_DEP_1)
	v_cvt_f32_u32_e32 v3, s10
	v_cvt_f32_u32_e32 v14, s11
	s_sub_u32 s0, 0, s10
	s_subb_u32 s7, 0, s11
	v_fmac_f32_e32 v3, 0x4f800000, v14
	s_delay_alu instid0(VALU_DEP_1) | instskip(SKIP_2) | instid1(VALU_DEP_1)
	v_rcp_f32_e32 v3, v3
	s_waitcnt_depctr 0xfff
	v_mul_f32_e32 v3, 0x5f7ffffc, v3
	v_mul_f32_e32 v14, 0x2f800000, v3
	s_delay_alu instid0(VALU_DEP_1) | instskip(NEXT) | instid1(VALU_DEP_1)
	v_trunc_f32_e32 v14, v14
	v_fmac_f32_e32 v3, 0xcf800000, v14
	v_cvt_u32_f32_e32 v14, v14
	s_delay_alu instid0(VALU_DEP_2) | instskip(NEXT) | instid1(VALU_DEP_2)
	v_cvt_u32_f32_e32 v3, v3
	v_mul_lo_u32 v15, s0, v14
	s_delay_alu instid0(VALU_DEP_2) | instskip(SKIP_1) | instid1(VALU_DEP_2)
	v_mul_hi_u32 v17, s0, v3
	v_mul_lo_u32 v18, s7, v3
	v_add_nc_u32_e32 v15, v17, v15
	v_mul_lo_u32 v17, s0, v3
	s_delay_alu instid0(VALU_DEP_2) | instskip(NEXT) | instid1(VALU_DEP_2)
	v_add_nc_u32_e32 v15, v15, v18
	v_mul_hi_u32 v18, v3, v17
	s_delay_alu instid0(VALU_DEP_2)
	v_mul_lo_u32 v19, v3, v15
	v_mul_hi_u32 v20, v3, v15
	v_mul_hi_u32 v21, v14, v17
	v_mul_lo_u32 v17, v14, v17
	v_mul_hi_u32 v22, v14, v15
	v_mul_lo_u32 v15, v14, v15
	v_add_co_u32 v18, vcc_lo, v18, v19
	v_add_co_ci_u32_e32 v19, vcc_lo, 0, v20, vcc_lo
	s_delay_alu instid0(VALU_DEP_2) | instskip(NEXT) | instid1(VALU_DEP_2)
	v_add_co_u32 v17, vcc_lo, v18, v17
	v_add_co_ci_u32_e32 v17, vcc_lo, v19, v21, vcc_lo
	v_add_co_ci_u32_e32 v18, vcc_lo, 0, v22, vcc_lo
	v_ashrrev_i32_e32 v21, 31, v13
	s_delay_alu instid0(VALU_DEP_3) | instskip(NEXT) | instid1(VALU_DEP_3)
	v_add_co_u32 v15, vcc_lo, v17, v15
	v_add_co_ci_u32_e32 v17, vcc_lo, 0, v18, vcc_lo
	s_delay_alu instid0(VALU_DEP_2) | instskip(NEXT) | instid1(VALU_DEP_2)
	v_add_co_u32 v3, vcc_lo, v3, v15
	v_add_co_ci_u32_e32 v14, vcc_lo, v14, v17, vcc_lo
	s_delay_alu instid0(VALU_DEP_2) | instskip(SKIP_1) | instid1(VALU_DEP_3)
	v_mul_hi_u32 v15, s0, v3
	v_mul_lo_u32 v18, s7, v3
	v_mul_lo_u32 v17, s0, v14
	s_delay_alu instid0(VALU_DEP_1) | instskip(SKIP_1) | instid1(VALU_DEP_2)
	v_add_nc_u32_e32 v15, v15, v17
	v_mul_lo_u32 v17, s0, v3
	v_add_nc_u32_e32 v15, v15, v18
	s_delay_alu instid0(VALU_DEP_2) | instskip(NEXT) | instid1(VALU_DEP_2)
	v_mul_hi_u32 v18, v3, v17
	v_mul_lo_u32 v19, v3, v15
	v_mul_hi_u32 v20, v3, v15
	v_mul_hi_u32 v22, v14, v17
	v_mul_lo_u32 v17, v14, v17
	v_mul_hi_u32 v23, v14, v15
	v_mul_lo_u32 v15, v14, v15
	v_add_co_u32 v18, vcc_lo, v18, v19
	v_add_co_ci_u32_e32 v19, vcc_lo, 0, v20, vcc_lo
	s_delay_alu instid0(VALU_DEP_2) | instskip(NEXT) | instid1(VALU_DEP_2)
	v_add_co_u32 v17, vcc_lo, v18, v17
	v_add_co_ci_u32_e32 v17, vcc_lo, v19, v22, vcc_lo
	v_add_co_ci_u32_e32 v18, vcc_lo, 0, v23, vcc_lo
	v_add_co_u32 v19, vcc_lo, v12, v21
	v_add_co_ci_u32_e32 v13, vcc_lo, v13, v21, vcc_lo
	s_delay_alu instid0(VALU_DEP_4) | instskip(NEXT) | instid1(VALU_DEP_4)
	v_add_co_u32 v15, vcc_lo, v17, v15
	v_add_co_ci_u32_e32 v17, vcc_lo, 0, v18, vcc_lo
	s_delay_alu instid0(VALU_DEP_4) | instskip(NEXT) | instid1(VALU_DEP_3)
	v_xor_b32_e32 v22, v19, v21
	v_add_co_u32 v3, vcc_lo, v3, v15
	s_delay_alu instid0(VALU_DEP_3) | instskip(SKIP_1) | instid1(VALU_DEP_3)
	v_add_co_ci_u32_e32 v15, vcc_lo, v14, v17, vcc_lo
	v_xor_b32_e32 v23, v13, v21
	v_mul_hi_u32 v24, v22, v3
	s_delay_alu instid0(VALU_DEP_3) | instskip(NEXT) | instid1(VALU_DEP_3)
	v_mad_u64_u32 v[13:14], null, v22, v15, 0
	v_mad_u64_u32 v[17:18], null, v23, v3, 0
	;; [unrolled: 1-line block ×3, first 2 shown]
	s_delay_alu instid0(VALU_DEP_3) | instskip(NEXT) | instid1(VALU_DEP_4)
	v_add_co_u32 v3, vcc_lo, v24, v13
	v_add_co_ci_u32_e32 v13, vcc_lo, 0, v14, vcc_lo
	s_delay_alu instid0(VALU_DEP_2) | instskip(NEXT) | instid1(VALU_DEP_2)
	v_add_co_u32 v3, vcc_lo, v3, v17
	v_add_co_ci_u32_e32 v3, vcc_lo, v13, v18, vcc_lo
	v_add_co_ci_u32_e32 v13, vcc_lo, 0, v20, vcc_lo
	s_delay_alu instid0(VALU_DEP_2) | instskip(NEXT) | instid1(VALU_DEP_2)
	v_add_co_u32 v3, vcc_lo, v3, v19
	v_add_co_ci_u32_e32 v15, vcc_lo, 0, v13, vcc_lo
	s_delay_alu instid0(VALU_DEP_2) | instskip(SKIP_1) | instid1(VALU_DEP_3)
	v_mul_lo_u32 v17, s11, v3
	v_mad_u64_u32 v[13:14], null, s10, v3, 0
	v_mul_lo_u32 v15, s10, v15
	s_delay_alu instid0(VALU_DEP_2) | instskip(NEXT) | instid1(VALU_DEP_2)
	v_sub_co_u32 v13, vcc_lo, v22, v13
	v_add3_u32 v14, v14, v15, v17
	v_add_co_u32 v17, s0, v3, 2
	s_delay_alu instid0(VALU_DEP_2) | instskip(NEXT) | instid1(VALU_DEP_1)
	v_sub_nc_u32_e32 v15, v23, v14
	v_subrev_co_ci_u32_e64 v15, s0, s11, v15, vcc_lo
	v_sub_co_u32 v18, s0, v13, s10
	v_sub_co_ci_u32_e32 v14, vcc_lo, v23, v14, vcc_lo
	s_delay_alu instid0(VALU_DEP_3) | instskip(NEXT) | instid1(VALU_DEP_3)
	v_subrev_co_ci_u32_e64 v15, s0, 0, v15, s0
	v_cmp_le_u32_e32 vcc_lo, s10, v18
	v_cndmask_b32_e64 v18, 0, -1, vcc_lo
	s_delay_alu instid0(VALU_DEP_3)
	v_cmp_le_u32_e32 vcc_lo, s11, v15
	v_cndmask_b32_e64 v19, 0, -1, vcc_lo
	v_cmp_le_u32_e32 vcc_lo, s10, v13
	v_cndmask_b32_e64 v13, 0, -1, vcc_lo
	;; [unrolled: 2-line block ×3, first 2 shown]
	v_cmp_eq_u32_e32 vcc_lo, s11, v15
	v_cndmask_b32_e32 v15, v19, v18, vcc_lo
	v_add_co_u32 v18, vcc_lo, v3, 1
	v_cmp_eq_u32_e32 vcc_lo, s11, v14
	v_cndmask_b32_e32 v13, v20, v13, vcc_lo
	s_delay_alu instid0(VALU_DEP_4) | instskip(NEXT) | instid1(VALU_DEP_4)
	v_cmp_ne_u32_e32 vcc_lo, 0, v15
	v_cndmask_b32_e32 v14, v18, v17, vcc_lo
	s_delay_alu instid0(VALU_DEP_3) | instskip(SKIP_1) | instid1(VALU_DEP_3)
	v_cmp_ne_u32_e32 vcc_lo, 0, v13
	v_xor_b32_e32 v13, s8, v21
	v_cndmask_b32_e32 v3, v3, v14, vcc_lo
	s_delay_alu instid0(VALU_DEP_1) | instskip(NEXT) | instid1(VALU_DEP_1)
	v_xor_b32_e32 v3, v3, v13
	v_sub_co_u32 v14, vcc_lo, v3, v13
.LBB7_15:                               ;   in Loop: Header=BB7_4 Depth=1
	s_and_not1_saveexec_b32 s0, s5
	s_cbranch_execz .LBB7_2
; %bb.16:                               ;   in Loop: Header=BB7_4 Depth=1
	v_cvt_f32_u32_e32 v3, s22
	s_sub_i32 s5, 0, s22
	s_delay_alu instid0(VALU_DEP_1) | instskip(SKIP_2) | instid1(VALU_DEP_1)
	v_rcp_iflag_f32_e32 v3, v3
	s_waitcnt_depctr 0xfff
	v_mul_f32_e32 v3, 0x4f7ffffe, v3
	v_cvt_u32_f32_e32 v3, v3
	s_delay_alu instid0(VALU_DEP_1) | instskip(NEXT) | instid1(VALU_DEP_1)
	v_mul_lo_u32 v13, s5, v3
	v_mul_hi_u32 v13, v3, v13
	s_delay_alu instid0(VALU_DEP_1) | instskip(NEXT) | instid1(VALU_DEP_1)
	v_add_nc_u32_e32 v3, v3, v13
	v_mul_hi_u32 v3, v12, v3
	s_delay_alu instid0(VALU_DEP_1) | instskip(SKIP_1) | instid1(VALU_DEP_2)
	v_mul_lo_u32 v13, v3, s22
	v_add_nc_u32_e32 v14, 1, v3
	v_sub_nc_u32_e32 v13, v12, v13
	s_delay_alu instid0(VALU_DEP_1) | instskip(SKIP_1) | instid1(VALU_DEP_4)
	v_cmp_le_u32_e32 vcc_lo, s22, v13
	v_subrev_nc_u32_e32 v15, s22, v13
	v_cndmask_b32_e32 v3, v3, v14, vcc_lo
	s_delay_alu instid0(VALU_DEP_1) | instskip(NEXT) | instid1(VALU_DEP_3)
	v_add_nc_u32_e32 v14, 1, v3
	v_cndmask_b32_e32 v13, v13, v15, vcc_lo
	s_delay_alu instid0(VALU_DEP_1) | instskip(NEXT) | instid1(VALU_DEP_3)
	v_cmp_le_u32_e32 vcc_lo, s22, v13
	v_cndmask_b32_e32 v14, v3, v14, vcc_lo
	s_branch .LBB7_2
.LBB7_17:
	s_or_b32 exec_lo, exec_lo, s1
	s_and_saveexec_b32 s0, s14
	s_delay_alu instid0(SALU_CYCLE_1)
	s_xor_b32 s0, exec_lo, s0
	s_cbranch_execnz .LBB7_19
.LBB7_18:
	s_nop 0
	s_sendmsg sendmsg(MSG_DEALLOC_VGPRS)
	s_endpgm
.LBB7_19:
	s_cbranch_execnz .LBB7_21
; %bb.20:
	; divergent unreachable
	s_nop 0
	s_sendmsg sendmsg(MSG_DEALLOC_VGPRS)
	s_endpgm
.LBB7_21:
	s_trap 2
	s_sendmsg_rtn_b32 s0, sendmsg(MSG_RTN_GET_DOORBELL)
	s_mov_b32 ttmp2, m0
	s_waitcnt lgkmcnt(0)
	s_and_b32 s0, s0, 0x3ff
	s_delay_alu instid0(SALU_CYCLE_1) | instskip(NEXT) | instid1(SALU_CYCLE_1)
	s_bitset1_b32 s0, 10
	s_mov_b32 m0, s0
	s_sendmsg sendmsg(MSG_INTERRUPT)
	s_mov_b32 m0, ttmp2
.LBB7_22:                               ; =>This Inner Loop Header: Depth=1
	s_sethalt 5
	s_branch .LBB7_22
	.section	.rodata,"a",@progbits
	.p2align	6, 0x0
	.amdhsa_kernel _ZN2at6native30max_unpooling2d_forward_kernelIN3c104HalfEEEvlPKT_PKllllllPS4_
		.amdhsa_group_segment_fixed_size 0
		.amdhsa_private_segment_fixed_size 0
		.amdhsa_kernarg_size 328
		.amdhsa_user_sgpr_count 15
		.amdhsa_user_sgpr_dispatch_ptr 0
		.amdhsa_user_sgpr_queue_ptr 0
		.amdhsa_user_sgpr_kernarg_segment_ptr 1
		.amdhsa_user_sgpr_dispatch_id 0
		.amdhsa_user_sgpr_private_segment_size 0
		.amdhsa_wavefront_size32 1
		.amdhsa_uses_dynamic_stack 0
		.amdhsa_enable_private_segment 0
		.amdhsa_system_sgpr_workgroup_id_x 1
		.amdhsa_system_sgpr_workgroup_id_y 0
		.amdhsa_system_sgpr_workgroup_id_z 0
		.amdhsa_system_sgpr_workgroup_info 0
		.amdhsa_system_vgpr_workitem_id 0
		.amdhsa_next_free_vgpr 25
		.amdhsa_next_free_sgpr 32
		.amdhsa_reserve_vcc 1
		.amdhsa_float_round_mode_32 0
		.amdhsa_float_round_mode_16_64 0
		.amdhsa_float_denorm_mode_32 3
		.amdhsa_float_denorm_mode_16_64 3
		.amdhsa_dx10_clamp 1
		.amdhsa_ieee_mode 1
		.amdhsa_fp16_overflow 0
		.amdhsa_workgroup_processor_mode 1
		.amdhsa_memory_ordered 1
		.amdhsa_forward_progress 0
		.amdhsa_shared_vgpr_count 0
		.amdhsa_exception_fp_ieee_invalid_op 0
		.amdhsa_exception_fp_denorm_src 0
		.amdhsa_exception_fp_ieee_div_zero 0
		.amdhsa_exception_fp_ieee_overflow 0
		.amdhsa_exception_fp_ieee_underflow 0
		.amdhsa_exception_fp_ieee_inexact 0
		.amdhsa_exception_int_div_zero 0
	.end_amdhsa_kernel
	.section	.text._ZN2at6native30max_unpooling2d_forward_kernelIN3c104HalfEEEvlPKT_PKllllllPS4_,"axG",@progbits,_ZN2at6native30max_unpooling2d_forward_kernelIN3c104HalfEEEvlPKT_PKllllllPS4_,comdat
.Lfunc_end7:
	.size	_ZN2at6native30max_unpooling2d_forward_kernelIN3c104HalfEEEvlPKT_PKllllllPS4_, .Lfunc_end7-_ZN2at6native30max_unpooling2d_forward_kernelIN3c104HalfEEEvlPKT_PKllllllPS4_
                                        ; -- End function
	.section	.AMDGPU.csdata,"",@progbits
; Kernel info:
; codeLenInByte = 3572
; NumSgprs: 34
; NumVgprs: 25
; ScratchSize: 0
; MemoryBound: 0
; FloatMode: 240
; IeeeMode: 1
; LDSByteSize: 0 bytes/workgroup (compile time only)
; SGPRBlocks: 4
; VGPRBlocks: 3
; NumSGPRsForWavesPerEU: 34
; NumVGPRsForWavesPerEU: 25
; Occupancy: 16
; WaveLimiterHint : 1
; COMPUTE_PGM_RSRC2:SCRATCH_EN: 0
; COMPUTE_PGM_RSRC2:USER_SGPR: 15
; COMPUTE_PGM_RSRC2:TRAP_HANDLER: 0
; COMPUTE_PGM_RSRC2:TGID_X_EN: 1
; COMPUTE_PGM_RSRC2:TGID_Y_EN: 0
; COMPUTE_PGM_RSRC2:TGID_Z_EN: 0
; COMPUTE_PGM_RSRC2:TIDIG_COMP_CNT: 0
	.section	.text._ZN2at6native30max_unpooling2d_forward_kernelIN3c108BFloat16EEEvlPKT_PKllllllPS4_,"axG",@progbits,_ZN2at6native30max_unpooling2d_forward_kernelIN3c108BFloat16EEEvlPKT_PKllllllPS4_,comdat
	.protected	_ZN2at6native30max_unpooling2d_forward_kernelIN3c108BFloat16EEEvlPKT_PKllllllPS4_ ; -- Begin function _ZN2at6native30max_unpooling2d_forward_kernelIN3c108BFloat16EEEvlPKT_PKllllllPS4_
	.globl	_ZN2at6native30max_unpooling2d_forward_kernelIN3c108BFloat16EEEvlPKT_PKllllllPS4_
	.p2align	8
	.type	_ZN2at6native30max_unpooling2d_forward_kernelIN3c108BFloat16EEEvlPKT_PKllllllPS4_,@function
_ZN2at6native30max_unpooling2d_forward_kernelIN3c108BFloat16EEEvlPKT_PKllllllPS4_: ; @_ZN2at6native30max_unpooling2d_forward_kernelIN3c108BFloat16EEEvlPKT_PKllllllPS4_
; %bb.0:
	s_clause 0x1
	s_load_b32 s4, s[0:1], 0x54
	s_load_b512 s[16:31], s[0:1], 0x0
	v_mov_b32_e32 v2, 0
	s_add_u32 s2, s0, 0x48
	s_addc_u32 s3, s1, 0
	s_mov_b32 s5, exec_lo
	s_delay_alu instid0(VALU_DEP_1)
	v_mov_b32_e32 v1, v2
	s_waitcnt lgkmcnt(0)
	s_and_b32 s4, s4, 0xffff
	s_delay_alu instid0(VALU_DEP_1) | instid1(SALU_CYCLE_1)
	v_mad_u64_u32 v[4:5], null, s4, s15, v[0:1]
	s_delay_alu instid0(VALU_DEP_1)
	v_cmpx_gt_i64_e64 s[16:17], v[4:5]
	s_cbranch_execz .LBB8_18
; %bb.1:
	v_cvt_f32_u32_e32 v0, s26
	s_load_b64 s[6:7], s[0:1], 0x40
	s_load_b32 s5, s[2:3], 0x0
	s_sub_i32 s0, 0, s26
	s_mul_hi_u32 s3, s30, s28
	v_rcp_iflag_f32_e32 v0, v0
	s_mul_i32 s8, s31, s28
	s_mul_i32 s2, s30, s28
	s_mov_b32 s1, 0
                                        ; implicit-def: $sgpr14
                                        ; implicit-def: $sgpr28
                                        ; implicit-def: $sgpr15
	s_waitcnt_depctr 0xfff
	v_dual_mov_b32 v3, v4 :: v_dual_mul_f32 v0, 0x4f7ffffe, v0
	s_delay_alu instid0(VALU_DEP_1)
	v_cvt_u32_f32_e32 v6, v0
	s_waitcnt lgkmcnt(0)
	s_mul_i32 s12, s5, s4
	s_ashr_i32 s4, s27, 31
	s_mov_b32 s13, s12
	v_mul_lo_u32 v0, s0, v6
	s_mul_i32 s0, s30, s29
	s_delay_alu instid0(SALU_CYCLE_1) | instskip(NEXT) | instid1(SALU_CYCLE_1)
	s_add_i32 s0, s3, s0
	s_add_i32 s3, s0, s8
	s_delay_alu instid0(VALU_DEP_1) | instskip(SKIP_2) | instid1(VALU_DEP_2)
	v_mul_hi_u32 v7, v6, v0
	v_dual_mov_b32 v0, s6 :: v_dual_mov_b32 v1, s7
	s_ashr_i32 s6, s25, 31
	v_dual_mov_b32 v7, v3 :: v_dual_add_nc_u32 v16, v6, v7
	v_mov_b32_e32 v6, v2
	s_branch .LBB8_4
.LBB8_2:                                ;   in Loop: Header=BB8_4 Depth=1
	s_or_b32 exec_lo, exec_lo, s0
	v_lshlrev_b64 v[10:11], 1, v[10:11]
	s_delay_alu instid0(VALU_DEP_2) | instskip(SKIP_2) | instid1(VALU_DEP_1)
	v_ashrrev_i32_e32 v15, 31, v14
	v_lshlrev_b64 v[8:9], 1, v[8:9]
	v_add_co_u32 v6, s0, v6, 0
	v_add_co_ci_u32_e64 v7, s0, s13, v7, s0
	v_add_co_u32 v10, vcc_lo, s18, v10
	v_add_co_ci_u32_e32 v11, vcc_lo, s19, v11, vcc_lo
	s_and_not1_b32 s0, s28, exec_lo
	s_and_not1_b32 s15, s15, exec_lo
	global_load_u16 v3, v[10:11], off
	v_mul_lo_u32 v10, v14, s22
	s_delay_alu instid0(VALU_DEP_1) | instskip(NEXT) | instid1(VALU_DEP_1)
	v_sub_nc_u32_e32 v10, v12, v10
	v_ashrrev_i32_e32 v11, 31, v10
	s_delay_alu instid0(VALU_DEP_1) | instskip(SKIP_2) | instid1(VALU_DEP_1)
	v_mad_u64_u32 v[12:13], null, v14, s22, v[10:11]
	v_mul_lo_u32 v10, v14, s23
	v_mul_lo_u32 v11, v15, s22
	v_add3_u32 v10, v11, v13, v10
	s_delay_alu instid0(VALU_DEP_4) | instskip(NEXT) | instid1(VALU_DEP_2)
	v_mul_lo_u32 v13, s3, v12
	v_mul_lo_u32 v14, s2, v10
	v_mad_u64_u32 v[10:11], null, s2, v12, 0
	s_delay_alu instid0(VALU_DEP_1) | instskip(NEXT) | instid1(VALU_DEP_1)
	v_add3_u32 v11, v11, v14, v13
	v_lshlrev_b64 v[10:11], 1, v[10:11]
	s_delay_alu instid0(VALU_DEP_1) | instskip(NEXT) | instid1(VALU_DEP_2)
	v_add_co_u32 v0, vcc_lo, v0, v10
	v_add_co_ci_u32_e32 v1, vcc_lo, v1, v11, vcc_lo
	v_add_co_u32 v4, vcc_lo, v4, s12
	v_add_co_ci_u32_e32 v5, vcc_lo, 0, v5, vcc_lo
	s_delay_alu instid0(VALU_DEP_4) | instskip(NEXT) | instid1(VALU_DEP_4)
	v_add_co_u32 v8, vcc_lo, v0, v8
	v_add_co_ci_u32_e32 v9, vcc_lo, v1, v9, vcc_lo
	s_delay_alu instid0(VALU_DEP_3) | instskip(SKIP_1) | instid1(SALU_CYCLE_1)
	v_cmp_le_i64_e32 vcc_lo, s[16:17], v[4:5]
	s_and_b32 s5, vcc_lo, exec_lo
	s_or_b32 s28, s0, s5
	s_waitcnt vmcnt(0)
	global_store_b16 v[8:9], v3, off
.LBB8_3:                                ;   in Loop: Header=BB8_4 Depth=1
	s_or_b32 exec_lo, exec_lo, s29
	s_delay_alu instid0(SALU_CYCLE_1) | instskip(NEXT) | instid1(SALU_CYCLE_1)
	s_and_b32 s0, exec_lo, s28
	s_or_b32 s1, s0, s1
	s_and_not1_b32 s0, s14, exec_lo
	s_and_b32 s5, s15, exec_lo
	s_delay_alu instid0(SALU_CYCLE_1)
	s_or_b32 s14, s0, s5
	s_and_not1_b32 exec_lo, exec_lo, s1
	s_cbranch_execz .LBB8_17
.LBB8_4:                                ; =>This Inner Loop Header: Depth=1
	s_delay_alu instid0(VALU_DEP_1) | instskip(SKIP_2) | instid1(VALU_DEP_1)
	v_ashrrev_i64 v[8:9], 29, v[6:7]
	s_or_b32 s15, s15, exec_lo
	s_or_b32 s28, s28, exec_lo
	v_add_co_u32 v8, vcc_lo, s20, v8
	s_delay_alu instid0(VALU_DEP_2) | instskip(SKIP_4) | instid1(VALU_DEP_2)
	v_add_co_ci_u32_e32 v9, vcc_lo, s21, v9, vcc_lo
	global_load_b64 v[8:9], v[8:9], off
	s_waitcnt vmcnt(0)
	v_ashrrev_i32_e32 v9, 31, v8
	v_cmp_lt_i32_e64 s0, -1, v8
	v_cmp_gt_i64_e32 vcc_lo, s[2:3], v[8:9]
	s_delay_alu instid0(VALU_DEP_2) | instskip(NEXT) | instid1(SALU_CYCLE_1)
	s_and_b32 s0, s0, vcc_lo
	s_and_saveexec_b32 s29, s0
	s_cbranch_execz .LBB8_3
; %bb.5:                                ;   in Loop: Header=BB8_4 Depth=1
	v_ashrrev_i32_e32 v11, 31, v7
	v_mov_b32_e32 v10, v7
                                        ; implicit-def: $vgpr14_vgpr15
	s_mov_b32 s0, exec_lo
	s_delay_alu instid0(VALU_DEP_2) | instskip(NEXT) | instid1(VALU_DEP_1)
	v_or_b32_e32 v3, s27, v11
	v_cmpx_ne_u64_e32 0, v[2:3]
	s_xor_b32 s7, exec_lo, s0
	s_cbranch_execz .LBB8_7
; %bb.6:                                ;   in Loop: Header=BB8_4 Depth=1
	s_add_u32 s8, s26, s4
	s_mov_b32 s5, s4
	s_addc_u32 s9, s27, s4
	s_delay_alu instid0(SALU_CYCLE_1) | instskip(NEXT) | instid1(SALU_CYCLE_1)
	s_xor_b64 s[8:9], s[8:9], s[4:5]
	v_cvt_f32_u32_e32 v3, s8
	v_cvt_f32_u32_e32 v12, s9
	s_sub_u32 s0, 0, s8
	s_subb_u32 s5, 0, s9
	s_delay_alu instid0(VALU_DEP_1) | instskip(NEXT) | instid1(VALU_DEP_1)
	v_fmac_f32_e32 v3, 0x4f800000, v12
	v_rcp_f32_e32 v3, v3
	s_waitcnt_depctr 0xfff
	v_mul_f32_e32 v3, 0x5f7ffffc, v3
	s_delay_alu instid0(VALU_DEP_1) | instskip(NEXT) | instid1(VALU_DEP_1)
	v_mul_f32_e32 v12, 0x2f800000, v3
	v_trunc_f32_e32 v12, v12
	s_delay_alu instid0(VALU_DEP_1) | instskip(SKIP_1) | instid1(VALU_DEP_2)
	v_fmac_f32_e32 v3, 0xcf800000, v12
	v_cvt_u32_f32_e32 v12, v12
	v_cvt_u32_f32_e32 v3, v3
	s_delay_alu instid0(VALU_DEP_2) | instskip(NEXT) | instid1(VALU_DEP_2)
	v_mul_lo_u32 v13, s0, v12
	v_mul_hi_u32 v14, s0, v3
	v_mul_lo_u32 v15, s5, v3
	s_delay_alu instid0(VALU_DEP_2) | instskip(SKIP_1) | instid1(VALU_DEP_2)
	v_add_nc_u32_e32 v13, v14, v13
	v_mul_lo_u32 v14, s0, v3
	v_add_nc_u32_e32 v13, v13, v15
	s_delay_alu instid0(VALU_DEP_2) | instskip(NEXT) | instid1(VALU_DEP_2)
	v_mul_hi_u32 v15, v3, v14
	v_mul_lo_u32 v17, v3, v13
	v_mul_hi_u32 v18, v3, v13
	v_mul_hi_u32 v19, v12, v14
	v_mul_lo_u32 v14, v12, v14
	v_mul_hi_u32 v20, v12, v13
	v_mul_lo_u32 v13, v12, v13
	v_add_co_u32 v15, vcc_lo, v15, v17
	v_add_co_ci_u32_e32 v17, vcc_lo, 0, v18, vcc_lo
	s_delay_alu instid0(VALU_DEP_2) | instskip(NEXT) | instid1(VALU_DEP_2)
	v_add_co_u32 v14, vcc_lo, v15, v14
	v_add_co_ci_u32_e32 v14, vcc_lo, v17, v19, vcc_lo
	v_add_co_ci_u32_e32 v15, vcc_lo, 0, v20, vcc_lo
	v_ashrrev_i32_e32 v19, 31, v11
	s_delay_alu instid0(VALU_DEP_3) | instskip(NEXT) | instid1(VALU_DEP_3)
	v_add_co_u32 v13, vcc_lo, v14, v13
	v_add_co_ci_u32_e32 v14, vcc_lo, 0, v15, vcc_lo
	s_delay_alu instid0(VALU_DEP_2) | instskip(NEXT) | instid1(VALU_DEP_2)
	v_add_co_u32 v3, vcc_lo, v3, v13
	v_add_co_ci_u32_e32 v12, vcc_lo, v12, v14, vcc_lo
	s_delay_alu instid0(VALU_DEP_2) | instskip(SKIP_1) | instid1(VALU_DEP_3)
	v_mul_hi_u32 v13, s0, v3
	v_mul_lo_u32 v15, s5, v3
	v_mul_lo_u32 v14, s0, v12
	s_delay_alu instid0(VALU_DEP_1) | instskip(SKIP_1) | instid1(VALU_DEP_2)
	v_add_nc_u32_e32 v13, v13, v14
	v_mul_lo_u32 v14, s0, v3
	v_add_nc_u32_e32 v13, v13, v15
	s_delay_alu instid0(VALU_DEP_2) | instskip(NEXT) | instid1(VALU_DEP_2)
	v_mul_hi_u32 v15, v3, v14
	v_mul_lo_u32 v17, v3, v13
	v_mul_hi_u32 v18, v3, v13
	v_mul_hi_u32 v20, v12, v14
	v_mul_lo_u32 v14, v12, v14
	v_mul_hi_u32 v21, v12, v13
	v_mul_lo_u32 v13, v12, v13
	v_add_co_u32 v15, vcc_lo, v15, v17
	v_add_co_ci_u32_e32 v17, vcc_lo, 0, v18, vcc_lo
	s_delay_alu instid0(VALU_DEP_2) | instskip(NEXT) | instid1(VALU_DEP_2)
	v_add_co_u32 v14, vcc_lo, v15, v14
	v_add_co_ci_u32_e32 v14, vcc_lo, v17, v20, vcc_lo
	v_add_co_ci_u32_e32 v15, vcc_lo, 0, v21, vcc_lo
	v_add_co_u32 v17, vcc_lo, v10, v19
	v_add_co_ci_u32_e32 v18, vcc_lo, v11, v19, vcc_lo
	s_delay_alu instid0(VALU_DEP_4) | instskip(NEXT) | instid1(VALU_DEP_4)
	v_add_co_u32 v13, vcc_lo, v14, v13
	v_add_co_ci_u32_e32 v14, vcc_lo, 0, v15, vcc_lo
	s_delay_alu instid0(VALU_DEP_4) | instskip(NEXT) | instid1(VALU_DEP_3)
	v_xor_b32_e32 v20, v17, v19
	v_add_co_u32 v3, vcc_lo, v3, v13
	s_delay_alu instid0(VALU_DEP_3) | instskip(SKIP_1) | instid1(VALU_DEP_3)
	v_add_co_ci_u32_e32 v21, vcc_lo, v12, v14, vcc_lo
	v_xor_b32_e32 v22, v18, v19
	v_mul_hi_u32 v23, v20, v3
	s_delay_alu instid0(VALU_DEP_3) | instskip(NEXT) | instid1(VALU_DEP_3)
	v_mad_u64_u32 v[12:13], null, v20, v21, 0
	v_mad_u64_u32 v[14:15], null, v22, v3, 0
	;; [unrolled: 1-line block ×3, first 2 shown]
	s_delay_alu instid0(VALU_DEP_3) | instskip(NEXT) | instid1(VALU_DEP_4)
	v_add_co_u32 v3, vcc_lo, v23, v12
	v_add_co_ci_u32_e32 v12, vcc_lo, 0, v13, vcc_lo
	s_delay_alu instid0(VALU_DEP_2) | instskip(NEXT) | instid1(VALU_DEP_2)
	v_add_co_u32 v3, vcc_lo, v3, v14
	v_add_co_ci_u32_e32 v3, vcc_lo, v12, v15, vcc_lo
	v_add_co_ci_u32_e32 v12, vcc_lo, 0, v18, vcc_lo
	s_delay_alu instid0(VALU_DEP_2) | instskip(NEXT) | instid1(VALU_DEP_2)
	v_add_co_u32 v3, vcc_lo, v3, v17
	v_add_co_ci_u32_e32 v14, vcc_lo, 0, v12, vcc_lo
	s_delay_alu instid0(VALU_DEP_2) | instskip(SKIP_1) | instid1(VALU_DEP_3)
	v_mul_lo_u32 v15, s9, v3
	v_mad_u64_u32 v[12:13], null, s8, v3, 0
	v_mul_lo_u32 v17, s8, v14
	s_delay_alu instid0(VALU_DEP_2) | instskip(NEXT) | instid1(VALU_DEP_2)
	v_sub_co_u32 v12, vcc_lo, v20, v12
	v_add3_u32 v13, v13, v17, v15
	s_delay_alu instid0(VALU_DEP_1) | instskip(NEXT) | instid1(VALU_DEP_1)
	v_sub_nc_u32_e32 v15, v22, v13
	v_subrev_co_ci_u32_e64 v15, s0, s9, v15, vcc_lo
	v_add_co_u32 v17, s0, v3, 2
	s_delay_alu instid0(VALU_DEP_1) | instskip(SKIP_3) | instid1(VALU_DEP_3)
	v_add_co_ci_u32_e64 v18, s0, 0, v14, s0
	v_sub_co_u32 v20, s0, v12, s8
	v_sub_co_ci_u32_e32 v13, vcc_lo, v22, v13, vcc_lo
	v_subrev_co_ci_u32_e64 v15, s0, 0, v15, s0
	v_cmp_le_u32_e32 vcc_lo, s8, v20
	s_delay_alu instid0(VALU_DEP_3) | instskip(SKIP_1) | instid1(VALU_DEP_4)
	v_cmp_eq_u32_e64 s0, s9, v13
	v_cndmask_b32_e64 v20, 0, -1, vcc_lo
	v_cmp_le_u32_e32 vcc_lo, s9, v15
	v_cndmask_b32_e64 v21, 0, -1, vcc_lo
	v_cmp_le_u32_e32 vcc_lo, s8, v12
	;; [unrolled: 2-line block ×3, first 2 shown]
	v_cndmask_b32_e64 v22, 0, -1, vcc_lo
	v_cmp_eq_u32_e32 vcc_lo, s9, v15
	s_delay_alu instid0(VALU_DEP_2) | instskip(SKIP_3) | instid1(VALU_DEP_3)
	v_cndmask_b32_e64 v12, v22, v12, s0
	v_cndmask_b32_e32 v15, v21, v20, vcc_lo
	v_add_co_u32 v20, vcc_lo, v3, 1
	v_add_co_ci_u32_e32 v21, vcc_lo, 0, v14, vcc_lo
	v_cmp_ne_u32_e32 vcc_lo, 0, v15
	s_delay_alu instid0(VALU_DEP_2) | instskip(NEXT) | instid1(VALU_DEP_4)
	v_cndmask_b32_e32 v13, v21, v18, vcc_lo
	v_cndmask_b32_e32 v15, v20, v17, vcc_lo
	v_cmp_ne_u32_e32 vcc_lo, 0, v12
	v_xor_b32_e32 v12, s4, v19
	s_delay_alu instid0(VALU_DEP_3) | instskip(SKIP_1) | instid1(VALU_DEP_2)
	v_cndmask_b32_e32 v3, v3, v15, vcc_lo
	v_cndmask_b32_e32 v13, v14, v13, vcc_lo
	v_xor_b32_e32 v3, v3, v12
	s_delay_alu instid0(VALU_DEP_2) | instskip(NEXT) | instid1(VALU_DEP_2)
	v_xor_b32_e32 v13, v13, v12
	v_sub_co_u32 v14, vcc_lo, v3, v12
	s_delay_alu instid0(VALU_DEP_2)
	v_sub_co_ci_u32_e32 v15, vcc_lo, v13, v12, vcc_lo
.LBB8_7:                                ;   in Loop: Header=BB8_4 Depth=1
	s_and_not1_saveexec_b32 s0, s7
; %bb.8:                                ;   in Loop: Header=BB8_4 Depth=1
	v_mul_hi_u32 v3, v7, v16
	v_mov_b32_e32 v15, v2
	s_delay_alu instid0(VALU_DEP_2) | instskip(NEXT) | instid1(VALU_DEP_1)
	v_mul_lo_u32 v12, v3, s26
	v_sub_nc_u32_e32 v12, v7, v12
	s_delay_alu instid0(VALU_DEP_1) | instskip(SKIP_1) | instid1(VALU_DEP_2)
	v_subrev_nc_u32_e32 v14, s26, v12
	v_cmp_le_u32_e32 vcc_lo, s26, v12
	v_dual_cndmask_b32 v12, v12, v14 :: v_dual_add_nc_u32 v13, 1, v3
	s_delay_alu instid0(VALU_DEP_1) | instskip(NEXT) | instid1(VALU_DEP_2)
	v_cndmask_b32_e32 v3, v3, v13, vcc_lo
	v_cmp_le_u32_e32 vcc_lo, s26, v12
	s_delay_alu instid0(VALU_DEP_2) | instskip(NEXT) | instid1(VALU_DEP_1)
	v_add_nc_u32_e32 v13, 1, v3
	v_cndmask_b32_e32 v14, v3, v13, vcc_lo
; %bb.9:                                ;   in Loop: Header=BB8_4 Depth=1
	s_or_b32 exec_lo, exec_lo, s0
	v_or_b32_e32 v3, s25, v15
                                        ; implicit-def: $vgpr12_vgpr13
	s_mov_b32 s0, exec_lo
	s_delay_alu instid0(VALU_DEP_1)
	v_cmpx_ne_u64_e32 0, v[2:3]
	s_xor_b32 s5, exec_lo, s0
	s_cbranch_execz .LBB8_11
; %bb.10:                               ;   in Loop: Header=BB8_4 Depth=1
	s_add_u32 s8, s24, s6
	s_mov_b32 s7, s6
	s_addc_u32 s9, s25, s6
	s_delay_alu instid0(SALU_CYCLE_1) | instskip(NEXT) | instid1(SALU_CYCLE_1)
	s_xor_b64 s[8:9], s[8:9], s[6:7]
	v_cvt_f32_u32_e32 v3, s8
	v_cvt_f32_u32_e32 v12, s9
	s_sub_u32 s0, 0, s8
	s_subb_u32 s7, 0, s9
	s_delay_alu instid0(VALU_DEP_1) | instskip(NEXT) | instid1(VALU_DEP_1)
	v_fmac_f32_e32 v3, 0x4f800000, v12
	v_rcp_f32_e32 v3, v3
	s_waitcnt_depctr 0xfff
	v_mul_f32_e32 v3, 0x5f7ffffc, v3
	s_delay_alu instid0(VALU_DEP_1) | instskip(NEXT) | instid1(VALU_DEP_1)
	v_mul_f32_e32 v12, 0x2f800000, v3
	v_trunc_f32_e32 v12, v12
	s_delay_alu instid0(VALU_DEP_1) | instskip(SKIP_1) | instid1(VALU_DEP_2)
	v_fmac_f32_e32 v3, 0xcf800000, v12
	v_cvt_u32_f32_e32 v12, v12
	v_cvt_u32_f32_e32 v3, v3
	s_delay_alu instid0(VALU_DEP_2) | instskip(NEXT) | instid1(VALU_DEP_2)
	v_mul_lo_u32 v13, s0, v12
	v_mul_hi_u32 v17, s0, v3
	v_mul_lo_u32 v18, s7, v3
	s_delay_alu instid0(VALU_DEP_2) | instskip(SKIP_1) | instid1(VALU_DEP_2)
	v_add_nc_u32_e32 v13, v17, v13
	v_mul_lo_u32 v17, s0, v3
	v_add_nc_u32_e32 v13, v13, v18
	s_delay_alu instid0(VALU_DEP_2) | instskip(NEXT) | instid1(VALU_DEP_2)
	v_mul_hi_u32 v18, v3, v17
	v_mul_lo_u32 v19, v3, v13
	v_mul_hi_u32 v20, v3, v13
	v_mul_hi_u32 v21, v12, v17
	v_mul_lo_u32 v17, v12, v17
	v_mul_hi_u32 v22, v12, v13
	v_mul_lo_u32 v13, v12, v13
	v_add_co_u32 v18, vcc_lo, v18, v19
	v_add_co_ci_u32_e32 v19, vcc_lo, 0, v20, vcc_lo
	s_delay_alu instid0(VALU_DEP_2) | instskip(NEXT) | instid1(VALU_DEP_2)
	v_add_co_u32 v17, vcc_lo, v18, v17
	v_add_co_ci_u32_e32 v17, vcc_lo, v19, v21, vcc_lo
	v_add_co_ci_u32_e32 v18, vcc_lo, 0, v22, vcc_lo
	v_ashrrev_i32_e32 v21, 31, v15
	s_delay_alu instid0(VALU_DEP_3) | instskip(NEXT) | instid1(VALU_DEP_3)
	v_add_co_u32 v13, vcc_lo, v17, v13
	v_add_co_ci_u32_e32 v17, vcc_lo, 0, v18, vcc_lo
	s_delay_alu instid0(VALU_DEP_2) | instskip(NEXT) | instid1(VALU_DEP_2)
	v_add_co_u32 v3, vcc_lo, v3, v13
	v_add_co_ci_u32_e32 v12, vcc_lo, v12, v17, vcc_lo
	s_delay_alu instid0(VALU_DEP_2) | instskip(SKIP_1) | instid1(VALU_DEP_3)
	v_mul_hi_u32 v13, s0, v3
	v_mul_lo_u32 v18, s7, v3
	v_mul_lo_u32 v17, s0, v12
	s_delay_alu instid0(VALU_DEP_1) | instskip(SKIP_1) | instid1(VALU_DEP_2)
	v_add_nc_u32_e32 v13, v13, v17
	v_mul_lo_u32 v17, s0, v3
	v_add_nc_u32_e32 v13, v13, v18
	s_delay_alu instid0(VALU_DEP_2) | instskip(NEXT) | instid1(VALU_DEP_2)
	v_mul_hi_u32 v18, v3, v17
	v_mul_lo_u32 v19, v3, v13
	v_mul_hi_u32 v20, v3, v13
	v_mul_hi_u32 v22, v12, v17
	v_mul_lo_u32 v17, v12, v17
	v_mul_hi_u32 v23, v12, v13
	v_mul_lo_u32 v13, v12, v13
	v_add_co_u32 v18, vcc_lo, v18, v19
	v_add_co_ci_u32_e32 v19, vcc_lo, 0, v20, vcc_lo
	s_delay_alu instid0(VALU_DEP_2) | instskip(NEXT) | instid1(VALU_DEP_2)
	v_add_co_u32 v17, vcc_lo, v18, v17
	v_add_co_ci_u32_e32 v17, vcc_lo, v19, v22, vcc_lo
	v_add_co_ci_u32_e32 v18, vcc_lo, 0, v23, vcc_lo
	v_add_co_u32 v14, vcc_lo, v14, v21
	v_add_co_ci_u32_e32 v15, vcc_lo, v15, v21, vcc_lo
	s_delay_alu instid0(VALU_DEP_4) | instskip(NEXT) | instid1(VALU_DEP_4)
	v_add_co_u32 v13, vcc_lo, v17, v13
	v_add_co_ci_u32_e32 v17, vcc_lo, 0, v18, vcc_lo
	s_delay_alu instid0(VALU_DEP_4) | instskip(NEXT) | instid1(VALU_DEP_3)
	v_xor_b32_e32 v19, v14, v21
	v_add_co_u32 v3, vcc_lo, v3, v13
	s_delay_alu instid0(VALU_DEP_3) | instskip(SKIP_1) | instid1(VALU_DEP_3)
	v_add_co_ci_u32_e32 v20, vcc_lo, v12, v17, vcc_lo
	v_xor_b32_e32 v22, v15, v21
	v_mul_hi_u32 v23, v19, v3
	s_delay_alu instid0(VALU_DEP_3) | instskip(NEXT) | instid1(VALU_DEP_3)
	v_mad_u64_u32 v[12:13], null, v19, v20, 0
	v_mad_u64_u32 v[14:15], null, v22, v3, 0
	;; [unrolled: 1-line block ×3, first 2 shown]
	s_delay_alu instid0(VALU_DEP_3) | instskip(NEXT) | instid1(VALU_DEP_4)
	v_add_co_u32 v3, vcc_lo, v23, v12
	v_add_co_ci_u32_e32 v12, vcc_lo, 0, v13, vcc_lo
	s_delay_alu instid0(VALU_DEP_2) | instskip(NEXT) | instid1(VALU_DEP_2)
	v_add_co_u32 v3, vcc_lo, v3, v14
	v_add_co_ci_u32_e32 v3, vcc_lo, v12, v15, vcc_lo
	v_add_co_ci_u32_e32 v12, vcc_lo, 0, v18, vcc_lo
	s_delay_alu instid0(VALU_DEP_2) | instskip(NEXT) | instid1(VALU_DEP_2)
	v_add_co_u32 v3, vcc_lo, v3, v17
	v_add_co_ci_u32_e32 v14, vcc_lo, 0, v12, vcc_lo
	s_delay_alu instid0(VALU_DEP_2) | instskip(SKIP_1) | instid1(VALU_DEP_3)
	v_mul_lo_u32 v15, s9, v3
	v_mad_u64_u32 v[12:13], null, s8, v3, 0
	v_mul_lo_u32 v17, s8, v14
	s_delay_alu instid0(VALU_DEP_2) | instskip(NEXT) | instid1(VALU_DEP_2)
	v_sub_co_u32 v12, vcc_lo, v19, v12
	v_add3_u32 v13, v13, v17, v15
	s_delay_alu instid0(VALU_DEP_1) | instskip(NEXT) | instid1(VALU_DEP_1)
	v_sub_nc_u32_e32 v15, v22, v13
	v_subrev_co_ci_u32_e64 v15, s0, s9, v15, vcc_lo
	v_add_co_u32 v17, s0, v3, 2
	s_delay_alu instid0(VALU_DEP_1) | instskip(SKIP_3) | instid1(VALU_DEP_3)
	v_add_co_ci_u32_e64 v18, s0, 0, v14, s0
	v_sub_co_u32 v19, s0, v12, s8
	v_sub_co_ci_u32_e32 v13, vcc_lo, v22, v13, vcc_lo
	v_subrev_co_ci_u32_e64 v15, s0, 0, v15, s0
	v_cmp_le_u32_e32 vcc_lo, s8, v19
	s_delay_alu instid0(VALU_DEP_3) | instskip(SKIP_1) | instid1(VALU_DEP_4)
	v_cmp_eq_u32_e64 s0, s9, v13
	v_cndmask_b32_e64 v19, 0, -1, vcc_lo
	v_cmp_le_u32_e32 vcc_lo, s9, v15
	v_cndmask_b32_e64 v20, 0, -1, vcc_lo
	v_cmp_le_u32_e32 vcc_lo, s8, v12
	;; [unrolled: 2-line block ×3, first 2 shown]
	v_cndmask_b32_e64 v22, 0, -1, vcc_lo
	v_cmp_eq_u32_e32 vcc_lo, s9, v15
	s_delay_alu instid0(VALU_DEP_2) | instskip(SKIP_3) | instid1(VALU_DEP_3)
	v_cndmask_b32_e64 v12, v22, v12, s0
	v_cndmask_b32_e32 v15, v20, v19, vcc_lo
	v_add_co_u32 v19, vcc_lo, v3, 1
	v_add_co_ci_u32_e32 v20, vcc_lo, 0, v14, vcc_lo
	v_cmp_ne_u32_e32 vcc_lo, 0, v15
	s_delay_alu instid0(VALU_DEP_2) | instskip(NEXT) | instid1(VALU_DEP_4)
	v_cndmask_b32_e32 v13, v20, v18, vcc_lo
	v_cndmask_b32_e32 v15, v19, v17, vcc_lo
	v_cmp_ne_u32_e32 vcc_lo, 0, v12
	v_xor_b32_e32 v17, s6, v21
	s_delay_alu instid0(VALU_DEP_3) | instskip(NEXT) | instid1(VALU_DEP_1)
	v_dual_cndmask_b32 v3, v3, v15 :: v_dual_cndmask_b32 v12, v14, v13
                                        ; implicit-def: $vgpr14_vgpr15
	v_xor_b32_e32 v3, v3, v17
	s_delay_alu instid0(VALU_DEP_2) | instskip(NEXT) | instid1(VALU_DEP_2)
	v_xor_b32_e32 v13, v12, v17
	v_sub_co_u32 v12, vcc_lo, v3, v17
	s_delay_alu instid0(VALU_DEP_2)
	v_sub_co_ci_u32_e32 v13, vcc_lo, v13, v17, vcc_lo
.LBB8_11:                               ;   in Loop: Header=BB8_4 Depth=1
	s_and_not1_saveexec_b32 s0, s5
	s_cbranch_execz .LBB8_13
; %bb.12:                               ;   in Loop: Header=BB8_4 Depth=1
	v_cvt_f32_u32_e32 v3, s24
	s_sub_i32 s5, 0, s24
	s_delay_alu instid0(VALU_DEP_1) | instskip(SKIP_2) | instid1(VALU_DEP_1)
	v_rcp_iflag_f32_e32 v3, v3
	s_waitcnt_depctr 0xfff
	v_mul_f32_e32 v3, 0x4f7ffffe, v3
	v_cvt_u32_f32_e32 v3, v3
	s_delay_alu instid0(VALU_DEP_1) | instskip(NEXT) | instid1(VALU_DEP_1)
	v_mul_lo_u32 v12, s5, v3
	v_mul_hi_u32 v12, v3, v12
	s_delay_alu instid0(VALU_DEP_1) | instskip(NEXT) | instid1(VALU_DEP_1)
	v_add_nc_u32_e32 v3, v3, v12
	v_mul_hi_u32 v3, v14, v3
	s_delay_alu instid0(VALU_DEP_1) | instskip(SKIP_1) | instid1(VALU_DEP_2)
	v_mul_lo_u32 v12, v3, s24
	v_add_nc_u32_e32 v13, 1, v3
	v_sub_nc_u32_e32 v12, v14, v12
	s_delay_alu instid0(VALU_DEP_1) | instskip(SKIP_1) | instid1(VALU_DEP_2)
	v_subrev_nc_u32_e32 v14, s24, v12
	v_cmp_le_u32_e32 vcc_lo, s24, v12
	v_dual_cndmask_b32 v12, v12, v14 :: v_dual_cndmask_b32 v3, v3, v13
	s_delay_alu instid0(VALU_DEP_1) | instskip(NEXT) | instid1(VALU_DEP_2)
	v_cmp_le_u32_e32 vcc_lo, s24, v12
	v_add_nc_u32_e32 v13, 1, v3
	s_delay_alu instid0(VALU_DEP_1)
	v_dual_cndmask_b32 v12, v3, v13 :: v_dual_mov_b32 v13, v2
.LBB8_13:                               ;   in Loop: Header=BB8_4 Depth=1
	s_or_b32 exec_lo, exec_lo, s0
	s_delay_alu instid0(VALU_DEP_1) | instskip(SKIP_1) | instid1(VALU_DEP_1)
	v_or_b32_e32 v3, s23, v13
                                        ; implicit-def: $vgpr14_vgpr15
	s_mov_b32 s0, exec_lo
	v_cmpx_ne_u64_e32 0, v[2:3]
	s_xor_b32 s5, exec_lo, s0
	s_cbranch_execz .LBB8_15
; %bb.14:                               ;   in Loop: Header=BB8_4 Depth=1
	s_ashr_i32 s8, s23, 31
	s_delay_alu instid0(SALU_CYCLE_1) | instskip(SKIP_2) | instid1(SALU_CYCLE_1)
	s_add_u32 s10, s22, s8
	s_mov_b32 s9, s8
	s_addc_u32 s11, s23, s8
	s_xor_b64 s[10:11], s[10:11], s[8:9]
	s_delay_alu instid0(SALU_CYCLE_1) | instskip(SKIP_3) | instid1(VALU_DEP_1)
	v_cvt_f32_u32_e32 v3, s10
	v_cvt_f32_u32_e32 v14, s11
	s_sub_u32 s0, 0, s10
	s_subb_u32 s7, 0, s11
	v_fmac_f32_e32 v3, 0x4f800000, v14
	s_delay_alu instid0(VALU_DEP_1) | instskip(SKIP_2) | instid1(VALU_DEP_1)
	v_rcp_f32_e32 v3, v3
	s_waitcnt_depctr 0xfff
	v_mul_f32_e32 v3, 0x5f7ffffc, v3
	v_mul_f32_e32 v14, 0x2f800000, v3
	s_delay_alu instid0(VALU_DEP_1) | instskip(NEXT) | instid1(VALU_DEP_1)
	v_trunc_f32_e32 v14, v14
	v_fmac_f32_e32 v3, 0xcf800000, v14
	v_cvt_u32_f32_e32 v14, v14
	s_delay_alu instid0(VALU_DEP_2) | instskip(NEXT) | instid1(VALU_DEP_2)
	v_cvt_u32_f32_e32 v3, v3
	v_mul_lo_u32 v15, s0, v14
	s_delay_alu instid0(VALU_DEP_2) | instskip(SKIP_1) | instid1(VALU_DEP_2)
	v_mul_hi_u32 v17, s0, v3
	v_mul_lo_u32 v18, s7, v3
	v_add_nc_u32_e32 v15, v17, v15
	v_mul_lo_u32 v17, s0, v3
	s_delay_alu instid0(VALU_DEP_2) | instskip(NEXT) | instid1(VALU_DEP_2)
	v_add_nc_u32_e32 v15, v15, v18
	v_mul_hi_u32 v18, v3, v17
	s_delay_alu instid0(VALU_DEP_2)
	v_mul_lo_u32 v19, v3, v15
	v_mul_hi_u32 v20, v3, v15
	v_mul_hi_u32 v21, v14, v17
	v_mul_lo_u32 v17, v14, v17
	v_mul_hi_u32 v22, v14, v15
	v_mul_lo_u32 v15, v14, v15
	v_add_co_u32 v18, vcc_lo, v18, v19
	v_add_co_ci_u32_e32 v19, vcc_lo, 0, v20, vcc_lo
	s_delay_alu instid0(VALU_DEP_2) | instskip(NEXT) | instid1(VALU_DEP_2)
	v_add_co_u32 v17, vcc_lo, v18, v17
	v_add_co_ci_u32_e32 v17, vcc_lo, v19, v21, vcc_lo
	v_add_co_ci_u32_e32 v18, vcc_lo, 0, v22, vcc_lo
	v_ashrrev_i32_e32 v21, 31, v13
	s_delay_alu instid0(VALU_DEP_3) | instskip(NEXT) | instid1(VALU_DEP_3)
	v_add_co_u32 v15, vcc_lo, v17, v15
	v_add_co_ci_u32_e32 v17, vcc_lo, 0, v18, vcc_lo
	s_delay_alu instid0(VALU_DEP_2) | instskip(NEXT) | instid1(VALU_DEP_2)
	v_add_co_u32 v3, vcc_lo, v3, v15
	v_add_co_ci_u32_e32 v14, vcc_lo, v14, v17, vcc_lo
	s_delay_alu instid0(VALU_DEP_2) | instskip(SKIP_1) | instid1(VALU_DEP_3)
	v_mul_hi_u32 v15, s0, v3
	v_mul_lo_u32 v18, s7, v3
	v_mul_lo_u32 v17, s0, v14
	s_delay_alu instid0(VALU_DEP_1) | instskip(SKIP_1) | instid1(VALU_DEP_2)
	v_add_nc_u32_e32 v15, v15, v17
	v_mul_lo_u32 v17, s0, v3
	v_add_nc_u32_e32 v15, v15, v18
	s_delay_alu instid0(VALU_DEP_2) | instskip(NEXT) | instid1(VALU_DEP_2)
	v_mul_hi_u32 v18, v3, v17
	v_mul_lo_u32 v19, v3, v15
	v_mul_hi_u32 v20, v3, v15
	v_mul_hi_u32 v22, v14, v17
	v_mul_lo_u32 v17, v14, v17
	v_mul_hi_u32 v23, v14, v15
	v_mul_lo_u32 v15, v14, v15
	v_add_co_u32 v18, vcc_lo, v18, v19
	v_add_co_ci_u32_e32 v19, vcc_lo, 0, v20, vcc_lo
	s_delay_alu instid0(VALU_DEP_2) | instskip(NEXT) | instid1(VALU_DEP_2)
	v_add_co_u32 v17, vcc_lo, v18, v17
	v_add_co_ci_u32_e32 v17, vcc_lo, v19, v22, vcc_lo
	v_add_co_ci_u32_e32 v18, vcc_lo, 0, v23, vcc_lo
	v_add_co_u32 v19, vcc_lo, v12, v21
	v_add_co_ci_u32_e32 v13, vcc_lo, v13, v21, vcc_lo
	s_delay_alu instid0(VALU_DEP_4) | instskip(NEXT) | instid1(VALU_DEP_4)
	v_add_co_u32 v15, vcc_lo, v17, v15
	v_add_co_ci_u32_e32 v17, vcc_lo, 0, v18, vcc_lo
	s_delay_alu instid0(VALU_DEP_4) | instskip(NEXT) | instid1(VALU_DEP_3)
	v_xor_b32_e32 v22, v19, v21
	v_add_co_u32 v3, vcc_lo, v3, v15
	s_delay_alu instid0(VALU_DEP_3) | instskip(SKIP_1) | instid1(VALU_DEP_3)
	v_add_co_ci_u32_e32 v15, vcc_lo, v14, v17, vcc_lo
	v_xor_b32_e32 v23, v13, v21
	v_mul_hi_u32 v24, v22, v3
	s_delay_alu instid0(VALU_DEP_3) | instskip(NEXT) | instid1(VALU_DEP_3)
	v_mad_u64_u32 v[13:14], null, v22, v15, 0
	v_mad_u64_u32 v[17:18], null, v23, v3, 0
	;; [unrolled: 1-line block ×3, first 2 shown]
	s_delay_alu instid0(VALU_DEP_3) | instskip(NEXT) | instid1(VALU_DEP_4)
	v_add_co_u32 v3, vcc_lo, v24, v13
	v_add_co_ci_u32_e32 v13, vcc_lo, 0, v14, vcc_lo
	s_delay_alu instid0(VALU_DEP_2) | instskip(NEXT) | instid1(VALU_DEP_2)
	v_add_co_u32 v3, vcc_lo, v3, v17
	v_add_co_ci_u32_e32 v3, vcc_lo, v13, v18, vcc_lo
	v_add_co_ci_u32_e32 v13, vcc_lo, 0, v20, vcc_lo
	s_delay_alu instid0(VALU_DEP_2) | instskip(NEXT) | instid1(VALU_DEP_2)
	v_add_co_u32 v3, vcc_lo, v3, v19
	v_add_co_ci_u32_e32 v15, vcc_lo, 0, v13, vcc_lo
	s_delay_alu instid0(VALU_DEP_2) | instskip(SKIP_1) | instid1(VALU_DEP_3)
	v_mul_lo_u32 v17, s11, v3
	v_mad_u64_u32 v[13:14], null, s10, v3, 0
	v_mul_lo_u32 v15, s10, v15
	s_delay_alu instid0(VALU_DEP_2) | instskip(NEXT) | instid1(VALU_DEP_2)
	v_sub_co_u32 v13, vcc_lo, v22, v13
	v_add3_u32 v14, v14, v15, v17
	v_add_co_u32 v17, s0, v3, 2
	s_delay_alu instid0(VALU_DEP_2) | instskip(NEXT) | instid1(VALU_DEP_1)
	v_sub_nc_u32_e32 v15, v23, v14
	v_subrev_co_ci_u32_e64 v15, s0, s11, v15, vcc_lo
	v_sub_co_u32 v18, s0, v13, s10
	v_sub_co_ci_u32_e32 v14, vcc_lo, v23, v14, vcc_lo
	s_delay_alu instid0(VALU_DEP_3) | instskip(NEXT) | instid1(VALU_DEP_3)
	v_subrev_co_ci_u32_e64 v15, s0, 0, v15, s0
	v_cmp_le_u32_e32 vcc_lo, s10, v18
	v_cndmask_b32_e64 v18, 0, -1, vcc_lo
	s_delay_alu instid0(VALU_DEP_3)
	v_cmp_le_u32_e32 vcc_lo, s11, v15
	v_cndmask_b32_e64 v19, 0, -1, vcc_lo
	v_cmp_le_u32_e32 vcc_lo, s10, v13
	v_cndmask_b32_e64 v13, 0, -1, vcc_lo
	;; [unrolled: 2-line block ×3, first 2 shown]
	v_cmp_eq_u32_e32 vcc_lo, s11, v15
	v_cndmask_b32_e32 v15, v19, v18, vcc_lo
	v_add_co_u32 v18, vcc_lo, v3, 1
	v_cmp_eq_u32_e32 vcc_lo, s11, v14
	v_cndmask_b32_e32 v13, v20, v13, vcc_lo
	s_delay_alu instid0(VALU_DEP_4) | instskip(NEXT) | instid1(VALU_DEP_4)
	v_cmp_ne_u32_e32 vcc_lo, 0, v15
	v_cndmask_b32_e32 v14, v18, v17, vcc_lo
	s_delay_alu instid0(VALU_DEP_3) | instskip(SKIP_1) | instid1(VALU_DEP_3)
	v_cmp_ne_u32_e32 vcc_lo, 0, v13
	v_xor_b32_e32 v13, s8, v21
	v_cndmask_b32_e32 v3, v3, v14, vcc_lo
	s_delay_alu instid0(VALU_DEP_1) | instskip(NEXT) | instid1(VALU_DEP_1)
	v_xor_b32_e32 v3, v3, v13
	v_sub_co_u32 v14, vcc_lo, v3, v13
.LBB8_15:                               ;   in Loop: Header=BB8_4 Depth=1
	s_and_not1_saveexec_b32 s0, s5
	s_cbranch_execz .LBB8_2
; %bb.16:                               ;   in Loop: Header=BB8_4 Depth=1
	v_cvt_f32_u32_e32 v3, s22
	s_sub_i32 s5, 0, s22
	s_delay_alu instid0(VALU_DEP_1) | instskip(SKIP_2) | instid1(VALU_DEP_1)
	v_rcp_iflag_f32_e32 v3, v3
	s_waitcnt_depctr 0xfff
	v_mul_f32_e32 v3, 0x4f7ffffe, v3
	v_cvt_u32_f32_e32 v3, v3
	s_delay_alu instid0(VALU_DEP_1) | instskip(NEXT) | instid1(VALU_DEP_1)
	v_mul_lo_u32 v13, s5, v3
	v_mul_hi_u32 v13, v3, v13
	s_delay_alu instid0(VALU_DEP_1) | instskip(NEXT) | instid1(VALU_DEP_1)
	v_add_nc_u32_e32 v3, v3, v13
	v_mul_hi_u32 v3, v12, v3
	s_delay_alu instid0(VALU_DEP_1) | instskip(SKIP_1) | instid1(VALU_DEP_2)
	v_mul_lo_u32 v13, v3, s22
	v_add_nc_u32_e32 v14, 1, v3
	v_sub_nc_u32_e32 v13, v12, v13
	s_delay_alu instid0(VALU_DEP_1) | instskip(SKIP_1) | instid1(VALU_DEP_4)
	v_cmp_le_u32_e32 vcc_lo, s22, v13
	v_subrev_nc_u32_e32 v15, s22, v13
	v_cndmask_b32_e32 v3, v3, v14, vcc_lo
	s_delay_alu instid0(VALU_DEP_1) | instskip(NEXT) | instid1(VALU_DEP_3)
	v_add_nc_u32_e32 v14, 1, v3
	v_cndmask_b32_e32 v13, v13, v15, vcc_lo
	s_delay_alu instid0(VALU_DEP_1) | instskip(NEXT) | instid1(VALU_DEP_3)
	v_cmp_le_u32_e32 vcc_lo, s22, v13
	v_cndmask_b32_e32 v14, v3, v14, vcc_lo
	s_branch .LBB8_2
.LBB8_17:
	s_or_b32 exec_lo, exec_lo, s1
	s_and_saveexec_b32 s0, s14
	s_delay_alu instid0(SALU_CYCLE_1)
	s_xor_b32 s0, exec_lo, s0
	s_cbranch_execnz .LBB8_19
.LBB8_18:
	s_nop 0
	s_sendmsg sendmsg(MSG_DEALLOC_VGPRS)
	s_endpgm
.LBB8_19:
	s_cbranch_execnz .LBB8_21
; %bb.20:
	; divergent unreachable
	s_nop 0
	s_sendmsg sendmsg(MSG_DEALLOC_VGPRS)
	s_endpgm
.LBB8_21:
	s_trap 2
	s_sendmsg_rtn_b32 s0, sendmsg(MSG_RTN_GET_DOORBELL)
	s_mov_b32 ttmp2, m0
	s_waitcnt lgkmcnt(0)
	s_and_b32 s0, s0, 0x3ff
	s_delay_alu instid0(SALU_CYCLE_1) | instskip(NEXT) | instid1(SALU_CYCLE_1)
	s_bitset1_b32 s0, 10
	s_mov_b32 m0, s0
	s_sendmsg sendmsg(MSG_INTERRUPT)
	s_mov_b32 m0, ttmp2
.LBB8_22:                               ; =>This Inner Loop Header: Depth=1
	s_sethalt 5
	s_branch .LBB8_22
	.section	.rodata,"a",@progbits
	.p2align	6, 0x0
	.amdhsa_kernel _ZN2at6native30max_unpooling2d_forward_kernelIN3c108BFloat16EEEvlPKT_PKllllllPS4_
		.amdhsa_group_segment_fixed_size 0
		.amdhsa_private_segment_fixed_size 0
		.amdhsa_kernarg_size 328
		.amdhsa_user_sgpr_count 15
		.amdhsa_user_sgpr_dispatch_ptr 0
		.amdhsa_user_sgpr_queue_ptr 0
		.amdhsa_user_sgpr_kernarg_segment_ptr 1
		.amdhsa_user_sgpr_dispatch_id 0
		.amdhsa_user_sgpr_private_segment_size 0
		.amdhsa_wavefront_size32 1
		.amdhsa_uses_dynamic_stack 0
		.amdhsa_enable_private_segment 0
		.amdhsa_system_sgpr_workgroup_id_x 1
		.amdhsa_system_sgpr_workgroup_id_y 0
		.amdhsa_system_sgpr_workgroup_id_z 0
		.amdhsa_system_sgpr_workgroup_info 0
		.amdhsa_system_vgpr_workitem_id 0
		.amdhsa_next_free_vgpr 25
		.amdhsa_next_free_sgpr 32
		.amdhsa_reserve_vcc 1
		.amdhsa_float_round_mode_32 0
		.amdhsa_float_round_mode_16_64 0
		.amdhsa_float_denorm_mode_32 3
		.amdhsa_float_denorm_mode_16_64 3
		.amdhsa_dx10_clamp 1
		.amdhsa_ieee_mode 1
		.amdhsa_fp16_overflow 0
		.amdhsa_workgroup_processor_mode 1
		.amdhsa_memory_ordered 1
		.amdhsa_forward_progress 0
		.amdhsa_shared_vgpr_count 0
		.amdhsa_exception_fp_ieee_invalid_op 0
		.amdhsa_exception_fp_denorm_src 0
		.amdhsa_exception_fp_ieee_div_zero 0
		.amdhsa_exception_fp_ieee_overflow 0
		.amdhsa_exception_fp_ieee_underflow 0
		.amdhsa_exception_fp_ieee_inexact 0
		.amdhsa_exception_int_div_zero 0
	.end_amdhsa_kernel
	.section	.text._ZN2at6native30max_unpooling2d_forward_kernelIN3c108BFloat16EEEvlPKT_PKllllllPS4_,"axG",@progbits,_ZN2at6native30max_unpooling2d_forward_kernelIN3c108BFloat16EEEvlPKT_PKllllllPS4_,comdat
.Lfunc_end8:
	.size	_ZN2at6native30max_unpooling2d_forward_kernelIN3c108BFloat16EEEvlPKT_PKllllllPS4_, .Lfunc_end8-_ZN2at6native30max_unpooling2d_forward_kernelIN3c108BFloat16EEEvlPKT_PKllllllPS4_
                                        ; -- End function
	.section	.AMDGPU.csdata,"",@progbits
; Kernel info:
; codeLenInByte = 3572
; NumSgprs: 34
; NumVgprs: 25
; ScratchSize: 0
; MemoryBound: 0
; FloatMode: 240
; IeeeMode: 1
; LDSByteSize: 0 bytes/workgroup (compile time only)
; SGPRBlocks: 4
; VGPRBlocks: 3
; NumSGPRsForWavesPerEU: 34
; NumVGPRsForWavesPerEU: 25
; Occupancy: 16
; WaveLimiterHint : 1
; COMPUTE_PGM_RSRC2:SCRATCH_EN: 0
; COMPUTE_PGM_RSRC2:USER_SGPR: 15
; COMPUTE_PGM_RSRC2:TRAP_HANDLER: 0
; COMPUTE_PGM_RSRC2:TGID_X_EN: 1
; COMPUTE_PGM_RSRC2:TGID_Y_EN: 0
; COMPUTE_PGM_RSRC2:TGID_Z_EN: 0
; COMPUTE_PGM_RSRC2:TIDIG_COMP_CNT: 0
	.section	.text._ZN2at6native30max_unpooling3d_forward_kernelIhEEvN5torch10headeronly6detail27GenericPackedTensorAccessorINS4_14TensorAccessorIN3c108ArrayRefIlEEKT_Lm3ENS3_16DefaultPtrTraitsElEENS_6detail16IndexBoundsCheckILm4ElEESB_Lm4ESC_lEENS5_INS6_IS9_KlLm3ESC_lEESG_SI_Lm4ESC_lEEPSA_llll,"axG",@progbits,_ZN2at6native30max_unpooling3d_forward_kernelIhEEvN5torch10headeronly6detail27GenericPackedTensorAccessorINS4_14TensorAccessorIN3c108ArrayRefIlEEKT_Lm3ENS3_16DefaultPtrTraitsElEENS_6detail16IndexBoundsCheckILm4ElEESB_Lm4ESC_lEENS5_INS6_IS9_KlLm3ESC_lEESG_SI_Lm4ESC_lEEPSA_llll,comdat
	.protected	_ZN2at6native30max_unpooling3d_forward_kernelIhEEvN5torch10headeronly6detail27GenericPackedTensorAccessorINS4_14TensorAccessorIN3c108ArrayRefIlEEKT_Lm3ENS3_16DefaultPtrTraitsElEENS_6detail16IndexBoundsCheckILm4ElEESB_Lm4ESC_lEENS5_INS6_IS9_KlLm3ESC_lEESG_SI_Lm4ESC_lEEPSA_llll ; -- Begin function _ZN2at6native30max_unpooling3d_forward_kernelIhEEvN5torch10headeronly6detail27GenericPackedTensorAccessorINS4_14TensorAccessorIN3c108ArrayRefIlEEKT_Lm3ENS3_16DefaultPtrTraitsElEENS_6detail16IndexBoundsCheckILm4ElEESB_Lm4ESC_lEENS5_INS6_IS9_KlLm3ESC_lEESG_SI_Lm4ESC_lEEPSA_llll
	.globl	_ZN2at6native30max_unpooling3d_forward_kernelIhEEvN5torch10headeronly6detail27GenericPackedTensorAccessorINS4_14TensorAccessorIN3c108ArrayRefIlEEKT_Lm3ENS3_16DefaultPtrTraitsElEENS_6detail16IndexBoundsCheckILm4ElEESB_Lm4ESC_lEENS5_INS6_IS9_KlLm3ESC_lEESG_SI_Lm4ESC_lEEPSA_llll
	.p2align	8
	.type	_ZN2at6native30max_unpooling3d_forward_kernelIhEEvN5torch10headeronly6detail27GenericPackedTensorAccessorINS4_14TensorAccessorIN3c108ArrayRefIlEEKT_Lm3ENS3_16DefaultPtrTraitsElEENS_6detail16IndexBoundsCheckILm4ElEESB_Lm4ESC_lEENS5_INS6_IS9_KlLm3ESC_lEESG_SI_Lm4ESC_lEEPSA_llll,@function
_ZN2at6native30max_unpooling3d_forward_kernelIhEEvN5torch10headeronly6detail27GenericPackedTensorAccessorINS4_14TensorAccessorIN3c108ArrayRefIlEEKT_Lm3ENS3_16DefaultPtrTraitsElEENS_6detail16IndexBoundsCheckILm4ElEESB_Lm4ESC_lEENS5_INS6_IS9_KlLm3ESC_lEESG_SI_Lm4ESC_lEEPSA_llll: ; @_ZN2at6native30max_unpooling3d_forward_kernelIhEEvN5torch10headeronly6detail27GenericPackedTensorAccessorINS4_14TensorAccessorIN3c108ArrayRefIlEEKT_Lm3ENS3_16DefaultPtrTraitsElEENS_6detail16IndexBoundsCheckILm4ElEESB_Lm4ESC_lEENS5_INS6_IS9_KlLm3ESC_lEESG_SI_Lm4ESC_lEEPSA_llll
; %bb.0:
	s_clause 0x1
	s_load_b64 s[2:3], s[0:1], 0xb0
	s_load_b64 s[22:23], s[0:1], 0x10
	s_waitcnt lgkmcnt(0)
	s_add_u32 s20, s15, s2
	s_addc_u32 s21, 0, s3
	s_delay_alu instid0(SALU_CYCLE_1) | instskip(SKIP_1) | instid1(SALU_CYCLE_1)
	s_or_b64 s[2:3], s[20:21], s[22:23]
	s_mov_b32 s2, 0
	s_cmp_lg_u64 s[2:3], 0
	s_cbranch_scc0 .LBB9_8
; %bb.1:
	s_ashr_i32 s4, s23, 31
	s_delay_alu instid0(SALU_CYCLE_1) | instskip(SKIP_2) | instid1(SALU_CYCLE_1)
	s_add_u32 s6, s22, s4
	s_mov_b32 s5, s4
	s_addc_u32 s7, s23, s4
	s_xor_b64 s[6:7], s[6:7], s[4:5]
	s_delay_alu instid0(SALU_CYCLE_1) | instskip(SKIP_3) | instid1(VALU_DEP_1)
	v_cvt_f32_u32_e32 v1, s6
	v_cvt_f32_u32_e32 v2, s7
	s_sub_u32 s9, 0, s6
	s_subb_u32 s10, 0, s7
	v_fmamk_f32 v1, v2, 0x4f800000, v1
	s_delay_alu instid0(VALU_DEP_1) | instskip(SKIP_2) | instid1(VALU_DEP_1)
	v_rcp_f32_e32 v1, v1
	s_waitcnt_depctr 0xfff
	v_mul_f32_e32 v1, 0x5f7ffffc, v1
	v_mul_f32_e32 v2, 0x2f800000, v1
	s_delay_alu instid0(VALU_DEP_1) | instskip(NEXT) | instid1(VALU_DEP_1)
	v_trunc_f32_e32 v2, v2
	v_fmamk_f32 v1, v2, 0xcf800000, v1
	v_cvt_u32_f32_e32 v2, v2
	s_delay_alu instid0(VALU_DEP_2) | instskip(NEXT) | instid1(VALU_DEP_2)
	v_cvt_u32_f32_e32 v1, v1
	v_readfirstlane_b32 s3, v2
	s_delay_alu instid0(VALU_DEP_2) | instskip(NEXT) | instid1(VALU_DEP_2)
	v_readfirstlane_b32 s8, v1
	s_mul_i32 s11, s9, s3
	s_delay_alu instid0(VALU_DEP_1)
	s_mul_hi_u32 s15, s9, s8
	s_mul_i32 s12, s10, s8
	s_add_i32 s11, s15, s11
	s_mul_i32 s16, s9, s8
	s_add_i32 s11, s11, s12
	s_mul_hi_u32 s15, s8, s16
	s_mul_hi_u32 s17, s3, s16
	s_mul_i32 s12, s3, s16
	s_mul_hi_u32 s16, s8, s11
	s_mul_i32 s8, s8, s11
	s_mul_hi_u32 s18, s3, s11
	s_add_u32 s8, s15, s8
	s_addc_u32 s15, 0, s16
	s_add_u32 s8, s8, s12
	s_mul_i32 s11, s3, s11
	s_addc_u32 s8, s15, s17
	s_addc_u32 s12, s18, 0
	s_add_u32 s8, s8, s11
	s_addc_u32 s11, 0, s12
	v_add_co_u32 v1, s8, v1, s8
	s_delay_alu instid0(VALU_DEP_1) | instskip(SKIP_1) | instid1(VALU_DEP_1)
	s_cmp_lg_u32 s8, 0
	s_addc_u32 s3, s3, s11
	v_readfirstlane_b32 s8, v1
	s_mul_i32 s11, s9, s3
	s_delay_alu instid0(VALU_DEP_1)
	s_mul_hi_u32 s12, s9, s8
	s_mul_i32 s10, s10, s8
	s_add_i32 s11, s12, s11
	s_mul_i32 s9, s9, s8
	s_add_i32 s11, s11, s10
	s_mul_hi_u32 s12, s3, s9
	s_mul_i32 s15, s3, s9
	s_mul_hi_u32 s9, s8, s9
	s_mul_hi_u32 s16, s8, s11
	s_mul_i32 s8, s8, s11
	s_mul_hi_u32 s10, s3, s11
	s_add_u32 s8, s9, s8
	s_addc_u32 s9, 0, s16
	s_add_u32 s8, s8, s15
	s_mul_i32 s11, s3, s11
	s_addc_u32 s8, s9, s12
	s_addc_u32 s9, s10, 0
	s_add_u32 s8, s8, s11
	s_addc_u32 s9, 0, s9
	v_add_co_u32 v1, s8, v1, s8
	s_delay_alu instid0(VALU_DEP_1) | instskip(SKIP_2) | instid1(VALU_DEP_1)
	s_cmp_lg_u32 s8, 0
	s_addc_u32 s3, s3, s9
	s_ashr_i32 s8, s21, 31
	v_readfirstlane_b32 s12, v1
	s_add_u32 s10, s20, s8
	s_mov_b32 s9, s8
	s_addc_u32 s11, s21, s8
	s_delay_alu instid0(SALU_CYCLE_1) | instskip(NEXT) | instid1(SALU_CYCLE_1)
	s_xor_b64 s[10:11], s[10:11], s[8:9]
	s_mul_i32 s16, s10, s3
	s_mul_hi_u32 s17, s10, s12
	s_mul_hi_u32 s15, s10, s3
	;; [unrolled: 1-line block ×3, first 2 shown]
	s_mul_i32 s12, s11, s12
	s_add_u32 s16, s17, s16
	s_addc_u32 s15, 0, s15
	s_mul_hi_u32 s18, s11, s3
	s_add_u32 s12, s16, s12
	s_mul_i32 s3, s11, s3
	s_addc_u32 s12, s15, s19
	s_addc_u32 s15, s18, 0
	s_add_u32 s3, s12, s3
	s_addc_u32 s12, 0, s15
	s_mul_i32 s18, s6, s3
	s_mul_hi_u32 s15, s6, s3
	s_mul_i32 s17, s6, s12
	v_sub_co_u32 v1, s10, s10, s18
	s_mul_i32 s16, s7, s3
	s_add_i32 s15, s15, s17
	s_delay_alu instid0(SALU_CYCLE_1) | instskip(NEXT) | instid1(VALU_DEP_1)
	s_add_i32 s15, s15, s16
	v_sub_co_u32 v2, s17, v1, s6
	s_sub_i32 s16, s11, s15
	s_cmp_lg_u32 s10, 0
	s_subb_u32 s16, s16, s7
	s_cmp_lg_u32 s17, 0
	v_readfirstlane_b32 s17, v2
	s_subb_u32 s16, s16, 0
	s_delay_alu instid0(SALU_CYCLE_1) | instskip(SKIP_1) | instid1(VALU_DEP_1)
	s_cmp_ge_u32 s16, s7
	s_cselect_b32 s18, -1, 0
	s_cmp_ge_u32 s17, s6
	s_cselect_b32 s17, -1, 0
	s_cmp_eq_u32 s16, s7
	s_cselect_b32 s16, s17, s18
	s_add_u32 s17, s3, 1
	s_addc_u32 s18, s12, 0
	s_add_u32 s19, s3, 2
	s_addc_u32 s24, s12, 0
	s_cmp_lg_u32 s16, 0
	s_cselect_b32 s16, s19, s17
	s_cselect_b32 s17, s24, s18
	s_cmp_lg_u32 s10, 0
	v_readfirstlane_b32 s10, v1
	s_subb_u32 s11, s11, s15
	s_delay_alu instid0(SALU_CYCLE_1) | instskip(SKIP_1) | instid1(VALU_DEP_1)
	s_cmp_ge_u32 s11, s7
	s_cselect_b32 s15, -1, 0
	s_cmp_ge_u32 s10, s6
	s_cselect_b32 s6, -1, 0
	s_cmp_eq_u32 s11, s7
	s_cselect_b32 s6, s6, s15
	s_delay_alu instid0(SALU_CYCLE_1) | instskip(SKIP_3) | instid1(SALU_CYCLE_1)
	s_cmp_lg_u32 s6, 0
	s_cselect_b32 s7, s17, s12
	s_cselect_b32 s6, s16, s3
	s_xor_b64 s[4:5], s[8:9], s[4:5]
	s_xor_b64 s[6:7], s[6:7], s[4:5]
	s_delay_alu instid0(SALU_CYCLE_1)
	s_sub_u32 s24, s6, s4
	s_subb_u32 s25, s7, s5
	s_load_b32 s3, s[0:1], 0xc4
	s_and_not1_b32 vcc_lo, exec_lo, s2
	s_cbranch_vccnz .LBB9_3
.LBB9_2:
	v_cvt_f32_u32_e32 v1, s22
	s_sub_i32 s4, 0, s22
	s_mov_b32 s25, 0
	s_delay_alu instid0(VALU_DEP_1) | instskip(SKIP_2) | instid1(VALU_DEP_1)
	v_rcp_iflag_f32_e32 v1, v1
	s_waitcnt_depctr 0xfff
	v_mul_f32_e32 v1, 0x4f7ffffe, v1
	v_cvt_u32_f32_e32 v1, v1
	s_delay_alu instid0(VALU_DEP_1) | instskip(NEXT) | instid1(VALU_DEP_1)
	v_readfirstlane_b32 s2, v1
	s_mul_i32 s4, s4, s2
	s_delay_alu instid0(SALU_CYCLE_1) | instskip(NEXT) | instid1(SALU_CYCLE_1)
	s_mul_hi_u32 s4, s2, s4
	s_add_i32 s2, s2, s4
	s_delay_alu instid0(SALU_CYCLE_1) | instskip(NEXT) | instid1(SALU_CYCLE_1)
	s_mul_hi_u32 s2, s20, s2
	s_mul_i32 s4, s2, s22
	s_add_i32 s5, s2, 1
	s_sub_i32 s4, s20, s4
	s_delay_alu instid0(SALU_CYCLE_1)
	s_sub_i32 s6, s4, s22
	s_cmp_ge_u32 s4, s22
	s_cselect_b32 s2, s5, s2
	s_cselect_b32 s4, s6, s4
	s_add_i32 s5, s2, 1
	s_cmp_ge_u32 s4, s22
	s_cselect_b32 s24, s5, s2
.LBB9_3:
	s_load_b128 s[4:7], s[0:1], 0x18
	v_bfe_u32 v1, v0, 10, 10
	v_dual_mov_b32 v5, 0 :: v_dual_and_b32 v4, 0x3ff, v0
	s_waitcnt lgkmcnt(0)
	s_lshr_b32 s2, s3, 16
	s_and_b32 s3, s3, 0xffff
	v_mad_u64_u32 v[2:3], null, s14, s2, v[1:2]
	v_mad_u64_u32 v[0:1], null, s3, s13, v[4:5]
	v_mov_b32_e32 v3, v5
	s_delay_alu instid0(VALU_DEP_1) | instskip(NEXT) | instid1(VALU_DEP_3)
	v_cmp_gt_i64_e32 vcc_lo, s[4:5], v[2:3]
	v_cmp_gt_i64_e64 s2, s[6:7], v[0:1]
	s_delay_alu instid0(VALU_DEP_1) | instskip(NEXT) | instid1(SALU_CYCLE_1)
	s_and_b32 s2, vcc_lo, s2
	s_and_saveexec_b32 s3, s2
	s_cbranch_execz .LBB9_7
; %bb.4:
	s_clause 0x1
	s_load_b256 s[4:11], s[0:1], 0x90
	s_load_b256 s[12:19], s[0:1], 0x70
	s_mul_i32 s2, s24, s23
	s_mul_hi_u32 s3, s24, s22
	s_mul_i32 s26, s25, s22
	s_mul_i32 s27, s24, s22
	s_load_b64 s[22:23], s[0:1], 0x48
	s_add_i32 s2, s3, s2
	s_delay_alu instid0(SALU_CYCLE_1)
	s_add_i32 s2, s2, s26
	s_waitcnt lgkmcnt(0)
	s_mul_i32 s3, s8, s7
	v_mad_u64_u32 v[3:4], null, s16, v2, 0
	s_mul_hi_u32 s7, s8, s6
	s_mul_i32 s9, s9, s6
	s_mul_i32 s6, s8, s6
	s_add_i32 s3, s7, s3
	s_mul_i32 s7, s6, s11
	s_mul_hi_u32 s8, s6, s10
	s_add_i32 s3, s3, s9
	s_add_i32 s7, s8, s7
	s_mul_i32 s3, s3, s10
	v_mad_u64_u32 v[5:6], null, s17, v2, v[4:5]
	s_mul_i32 s26, s12, s25
	s_mul_hi_u32 s28, s12, s24
	s_add_i32 s7, s7, s3
	s_sub_u32 s3, s20, s27
	s_mul_i32 s13, s13, s24
	s_subb_u32 s8, s21, s2
	s_add_i32 s2, s28, s26
	v_mul_lo_u32 v8, s19, v0
	v_mul_lo_u32 v9, s18, v1
	v_mad_u64_u32 v[6:7], null, s18, v0, 0
	s_mul_i32 s12, s12, s24
	s_add_i32 s13, s2, s13
	v_mov_b32_e32 v4, v5
	s_lshl_b64 s[12:13], s[12:13], 3
	s_mul_hi_u32 s2, s14, s3
	s_mul_i32 s9, s14, s8
	s_add_u32 s11, s22, s12
	s_addc_u32 s16, s23, s13
	s_add_i32 s2, s2, s9
	s_mul_i32 s9, s15, s3
	s_mul_i32 s12, s14, s3
	s_add_i32 s13, s2, s9
	v_add3_u32 v7, v7, v9, v8
	v_lshlrev_b64 v[3:4], 3, v[3:4]
	s_lshl_b64 s[12:13], s[12:13], 3
	s_mul_i32 s6, s6, s10
	s_add_u32 s2, s11, s12
	v_lshlrev_b64 v[5:6], 3, v[6:7]
	s_addc_u32 s9, s16, s13
	v_add_co_u32 v3, vcc_lo, s2, v3
	v_add_co_ci_u32_e32 v4, vcc_lo, s9, v4, vcc_lo
	s_delay_alu instid0(VALU_DEP_2) | instskip(NEXT) | instid1(VALU_DEP_2)
	v_add_co_u32 v3, vcc_lo, v3, v5
	v_add_co_ci_u32_e32 v4, vcc_lo, v4, v6, vcc_lo
	global_load_b64 v[3:4], v[3:4], off
	s_waitcnt vmcnt(0)
	v_cmp_lt_i64_e32 vcc_lo, -1, v[3:4]
	v_cmp_gt_i64_e64 s2, s[6:7], v[3:4]
	s_delay_alu instid0(VALU_DEP_1) | instskip(NEXT) | instid1(SALU_CYCLE_1)
	s_and_b32 s2, vcc_lo, s2
	s_and_saveexec_b32 s9, s2
	s_delay_alu instid0(SALU_CYCLE_1)
	s_xor_b32 s2, exec_lo, s9
	s_cbranch_execz .LBB9_6
; %bb.5:
	s_clause 0x1
	s_load_b256 s[12:19], s[0:1], 0x28
	s_load_b64 s[0:1], s[0:1], 0x0
	s_waitcnt lgkmcnt(0)
	s_mul_i32 s9, s12, s25
	s_mul_hi_u32 s10, s12, s24
	s_mul_i32 s11, s13, s24
	s_add_i32 s9, s10, s9
	s_mul_i32 s12, s12, s24
	s_mul_i32 s8, s14, s8
	s_mul_hi_u32 s13, s14, s3
	s_add_i32 s9, s9, s11
	s_add_u32 s0, s0, s12
	s_mul_i32 s10, s15, s3
	s_addc_u32 s1, s1, s9
	s_add_i32 s8, s13, s8
	s_mul_i32 s3, s14, s3
	s_add_i32 s8, s8, s10
	s_add_u32 s0, s0, s3
	s_addc_u32 s1, s1, s8
	s_mul_i32 s3, s6, s24
	v_mad_u64_u32 v[5:6], null, s16, v2, s[0:1]
	s_mul_i32 s0, s6, s25
	s_mul_hi_u32 s1, s6, s24
	s_delay_alu instid0(SALU_CYCLE_1) | instskip(SKIP_1) | instid1(VALU_DEP_1)
	s_add_i32 s0, s1, s0
	s_mul_i32 s1, s7, s24
	v_mad_u64_u32 v[7:8], null, s17, v2, v[6:7]
	s_add_i32 s0, s0, s1
	s_add_u32 s1, s4, s3
	s_addc_u32 s0, s5, s0
	s_delay_alu instid0(VALU_DEP_1) | instskip(SKIP_1) | instid1(VALU_DEP_2)
	v_mov_b32_e32 v6, v7
	v_mul_lo_u32 v7, s18, v1
	v_mad_u64_u32 v[1:2], null, s18, v0, v[5:6]
	v_mul_lo_u32 v0, s19, v0
	s_delay_alu instid0(VALU_DEP_1)
	v_add3_u32 v2, v0, v2, v7
	v_add_co_u32 v0, vcc_lo, s1, v3
	global_load_u8 v2, v[1:2], off
	v_add_co_ci_u32_e32 v1, vcc_lo, s0, v4, vcc_lo
	s_waitcnt vmcnt(0)
	global_store_b8 v[0:1], v2, off
.LBB9_6:
	s_and_not1_saveexec_b32 s0, s2
	s_cbranch_execnz .LBB9_9
.LBB9_7:
	s_nop 0
	s_sendmsg sendmsg(MSG_DEALLOC_VGPRS)
	s_endpgm
.LBB9_8:
                                        ; implicit-def: $sgpr24_sgpr25
	s_load_b32 s3, s[0:1], 0xc4
	s_branch .LBB9_2
.LBB9_9:
	s_cbranch_execnz .LBB9_11
; %bb.10:
	; divergent unreachable
	s_nop 0
	s_sendmsg sendmsg(MSG_DEALLOC_VGPRS)
	s_endpgm
.LBB9_11:
	s_trap 2
	s_sendmsg_rtn_b32 s0, sendmsg(MSG_RTN_GET_DOORBELL)
	s_mov_b32 ttmp2, m0
	s_waitcnt lgkmcnt(0)
	s_and_b32 s0, s0, 0x3ff
	s_delay_alu instid0(SALU_CYCLE_1) | instskip(NEXT) | instid1(SALU_CYCLE_1)
	s_bitset1_b32 s0, 10
	s_mov_b32 m0, s0
	s_sendmsg sendmsg(MSG_INTERRUPT)
	s_mov_b32 m0, ttmp2
.LBB9_12:                               ; =>This Inner Loop Header: Depth=1
	s_sethalt 5
	s_branch .LBB9_12
	.section	.rodata,"a",@progbits
	.p2align	6, 0x0
	.amdhsa_kernel _ZN2at6native30max_unpooling3d_forward_kernelIhEEvN5torch10headeronly6detail27GenericPackedTensorAccessorINS4_14TensorAccessorIN3c108ArrayRefIlEEKT_Lm3ENS3_16DefaultPtrTraitsElEENS_6detail16IndexBoundsCheckILm4ElEESB_Lm4ESC_lEENS5_INS6_IS9_KlLm3ESC_lEESG_SI_Lm4ESC_lEEPSA_llll
		.amdhsa_group_segment_fixed_size 0
		.amdhsa_private_segment_fixed_size 0
		.amdhsa_kernarg_size 440
		.amdhsa_user_sgpr_count 13
		.amdhsa_user_sgpr_dispatch_ptr 0
		.amdhsa_user_sgpr_queue_ptr 0
		.amdhsa_user_sgpr_kernarg_segment_ptr 1
		.amdhsa_user_sgpr_dispatch_id 0
		.amdhsa_user_sgpr_private_segment_size 0
		.amdhsa_wavefront_size32 1
		.amdhsa_uses_dynamic_stack 0
		.amdhsa_enable_private_segment 0
		.amdhsa_system_sgpr_workgroup_id_x 1
		.amdhsa_system_sgpr_workgroup_id_y 1
		.amdhsa_system_sgpr_workgroup_id_z 1
		.amdhsa_system_sgpr_workgroup_info 0
		.amdhsa_system_vgpr_workitem_id 1
		.amdhsa_next_free_vgpr 10
		.amdhsa_next_free_sgpr 29
		.amdhsa_reserve_vcc 1
		.amdhsa_float_round_mode_32 0
		.amdhsa_float_round_mode_16_64 0
		.amdhsa_float_denorm_mode_32 3
		.amdhsa_float_denorm_mode_16_64 3
		.amdhsa_dx10_clamp 1
		.amdhsa_ieee_mode 1
		.amdhsa_fp16_overflow 0
		.amdhsa_workgroup_processor_mode 1
		.amdhsa_memory_ordered 1
		.amdhsa_forward_progress 0
		.amdhsa_shared_vgpr_count 0
		.amdhsa_exception_fp_ieee_invalid_op 0
		.amdhsa_exception_fp_denorm_src 0
		.amdhsa_exception_fp_ieee_div_zero 0
		.amdhsa_exception_fp_ieee_overflow 0
		.amdhsa_exception_fp_ieee_underflow 0
		.amdhsa_exception_fp_ieee_inexact 0
		.amdhsa_exception_int_div_zero 0
	.end_amdhsa_kernel
	.section	.text._ZN2at6native30max_unpooling3d_forward_kernelIhEEvN5torch10headeronly6detail27GenericPackedTensorAccessorINS4_14TensorAccessorIN3c108ArrayRefIlEEKT_Lm3ENS3_16DefaultPtrTraitsElEENS_6detail16IndexBoundsCheckILm4ElEESB_Lm4ESC_lEENS5_INS6_IS9_KlLm3ESC_lEESG_SI_Lm4ESC_lEEPSA_llll,"axG",@progbits,_ZN2at6native30max_unpooling3d_forward_kernelIhEEvN5torch10headeronly6detail27GenericPackedTensorAccessorINS4_14TensorAccessorIN3c108ArrayRefIlEEKT_Lm3ENS3_16DefaultPtrTraitsElEENS_6detail16IndexBoundsCheckILm4ElEESB_Lm4ESC_lEENS5_INS6_IS9_KlLm3ESC_lEESG_SI_Lm4ESC_lEEPSA_llll,comdat
.Lfunc_end9:
	.size	_ZN2at6native30max_unpooling3d_forward_kernelIhEEvN5torch10headeronly6detail27GenericPackedTensorAccessorINS4_14TensorAccessorIN3c108ArrayRefIlEEKT_Lm3ENS3_16DefaultPtrTraitsElEENS_6detail16IndexBoundsCheckILm4ElEESB_Lm4ESC_lEENS5_INS6_IS9_KlLm3ESC_lEESG_SI_Lm4ESC_lEEPSA_llll, .Lfunc_end9-_ZN2at6native30max_unpooling3d_forward_kernelIhEEvN5torch10headeronly6detail27GenericPackedTensorAccessorINS4_14TensorAccessorIN3c108ArrayRefIlEEKT_Lm3ENS3_16DefaultPtrTraitsElEENS_6detail16IndexBoundsCheckILm4ElEESB_Lm4ESC_lEENS5_INS6_IS9_KlLm3ESC_lEESG_SI_Lm4ESC_lEEPSA_llll
                                        ; -- End function
	.section	.AMDGPU.csdata,"",@progbits
; Kernel info:
; codeLenInByte = 1540
; NumSgprs: 31
; NumVgprs: 10
; ScratchSize: 0
; MemoryBound: 0
; FloatMode: 240
; IeeeMode: 1
; LDSByteSize: 0 bytes/workgroup (compile time only)
; SGPRBlocks: 3
; VGPRBlocks: 1
; NumSGPRsForWavesPerEU: 31
; NumVGPRsForWavesPerEU: 10
; Occupancy: 16
; WaveLimiterHint : 1
; COMPUTE_PGM_RSRC2:SCRATCH_EN: 0
; COMPUTE_PGM_RSRC2:USER_SGPR: 13
; COMPUTE_PGM_RSRC2:TRAP_HANDLER: 0
; COMPUTE_PGM_RSRC2:TGID_X_EN: 1
; COMPUTE_PGM_RSRC2:TGID_Y_EN: 1
; COMPUTE_PGM_RSRC2:TGID_Z_EN: 1
; COMPUTE_PGM_RSRC2:TIDIG_COMP_CNT: 1
	.section	.text._ZN2at6native30max_unpooling3d_forward_kernelIaEEvN5torch10headeronly6detail27GenericPackedTensorAccessorINS4_14TensorAccessorIN3c108ArrayRefIlEEKT_Lm3ENS3_16DefaultPtrTraitsElEENS_6detail16IndexBoundsCheckILm4ElEESB_Lm4ESC_lEENS5_INS6_IS9_KlLm3ESC_lEESG_SI_Lm4ESC_lEEPSA_llll,"axG",@progbits,_ZN2at6native30max_unpooling3d_forward_kernelIaEEvN5torch10headeronly6detail27GenericPackedTensorAccessorINS4_14TensorAccessorIN3c108ArrayRefIlEEKT_Lm3ENS3_16DefaultPtrTraitsElEENS_6detail16IndexBoundsCheckILm4ElEESB_Lm4ESC_lEENS5_INS6_IS9_KlLm3ESC_lEESG_SI_Lm4ESC_lEEPSA_llll,comdat
	.protected	_ZN2at6native30max_unpooling3d_forward_kernelIaEEvN5torch10headeronly6detail27GenericPackedTensorAccessorINS4_14TensorAccessorIN3c108ArrayRefIlEEKT_Lm3ENS3_16DefaultPtrTraitsElEENS_6detail16IndexBoundsCheckILm4ElEESB_Lm4ESC_lEENS5_INS6_IS9_KlLm3ESC_lEESG_SI_Lm4ESC_lEEPSA_llll ; -- Begin function _ZN2at6native30max_unpooling3d_forward_kernelIaEEvN5torch10headeronly6detail27GenericPackedTensorAccessorINS4_14TensorAccessorIN3c108ArrayRefIlEEKT_Lm3ENS3_16DefaultPtrTraitsElEENS_6detail16IndexBoundsCheckILm4ElEESB_Lm4ESC_lEENS5_INS6_IS9_KlLm3ESC_lEESG_SI_Lm4ESC_lEEPSA_llll
	.globl	_ZN2at6native30max_unpooling3d_forward_kernelIaEEvN5torch10headeronly6detail27GenericPackedTensorAccessorINS4_14TensorAccessorIN3c108ArrayRefIlEEKT_Lm3ENS3_16DefaultPtrTraitsElEENS_6detail16IndexBoundsCheckILm4ElEESB_Lm4ESC_lEENS5_INS6_IS9_KlLm3ESC_lEESG_SI_Lm4ESC_lEEPSA_llll
	.p2align	8
	.type	_ZN2at6native30max_unpooling3d_forward_kernelIaEEvN5torch10headeronly6detail27GenericPackedTensorAccessorINS4_14TensorAccessorIN3c108ArrayRefIlEEKT_Lm3ENS3_16DefaultPtrTraitsElEENS_6detail16IndexBoundsCheckILm4ElEESB_Lm4ESC_lEENS5_INS6_IS9_KlLm3ESC_lEESG_SI_Lm4ESC_lEEPSA_llll,@function
_ZN2at6native30max_unpooling3d_forward_kernelIaEEvN5torch10headeronly6detail27GenericPackedTensorAccessorINS4_14TensorAccessorIN3c108ArrayRefIlEEKT_Lm3ENS3_16DefaultPtrTraitsElEENS_6detail16IndexBoundsCheckILm4ElEESB_Lm4ESC_lEENS5_INS6_IS9_KlLm3ESC_lEESG_SI_Lm4ESC_lEEPSA_llll: ; @_ZN2at6native30max_unpooling3d_forward_kernelIaEEvN5torch10headeronly6detail27GenericPackedTensorAccessorINS4_14TensorAccessorIN3c108ArrayRefIlEEKT_Lm3ENS3_16DefaultPtrTraitsElEENS_6detail16IndexBoundsCheckILm4ElEESB_Lm4ESC_lEENS5_INS6_IS9_KlLm3ESC_lEESG_SI_Lm4ESC_lEEPSA_llll
; %bb.0:
	s_clause 0x1
	s_load_b64 s[2:3], s[0:1], 0xb0
	s_load_b64 s[22:23], s[0:1], 0x10
	s_waitcnt lgkmcnt(0)
	s_add_u32 s20, s15, s2
	s_addc_u32 s21, 0, s3
	s_delay_alu instid0(SALU_CYCLE_1) | instskip(SKIP_1) | instid1(SALU_CYCLE_1)
	s_or_b64 s[2:3], s[20:21], s[22:23]
	s_mov_b32 s2, 0
	s_cmp_lg_u64 s[2:3], 0
	s_cbranch_scc0 .LBB10_8
; %bb.1:
	s_ashr_i32 s4, s23, 31
	s_delay_alu instid0(SALU_CYCLE_1) | instskip(SKIP_2) | instid1(SALU_CYCLE_1)
	s_add_u32 s6, s22, s4
	s_mov_b32 s5, s4
	s_addc_u32 s7, s23, s4
	s_xor_b64 s[6:7], s[6:7], s[4:5]
	s_delay_alu instid0(SALU_CYCLE_1) | instskip(SKIP_3) | instid1(VALU_DEP_1)
	v_cvt_f32_u32_e32 v1, s6
	v_cvt_f32_u32_e32 v2, s7
	s_sub_u32 s9, 0, s6
	s_subb_u32 s10, 0, s7
	v_fmamk_f32 v1, v2, 0x4f800000, v1
	s_delay_alu instid0(VALU_DEP_1) | instskip(SKIP_2) | instid1(VALU_DEP_1)
	v_rcp_f32_e32 v1, v1
	s_waitcnt_depctr 0xfff
	v_mul_f32_e32 v1, 0x5f7ffffc, v1
	v_mul_f32_e32 v2, 0x2f800000, v1
	s_delay_alu instid0(VALU_DEP_1) | instskip(NEXT) | instid1(VALU_DEP_1)
	v_trunc_f32_e32 v2, v2
	v_fmamk_f32 v1, v2, 0xcf800000, v1
	v_cvt_u32_f32_e32 v2, v2
	s_delay_alu instid0(VALU_DEP_2) | instskip(NEXT) | instid1(VALU_DEP_2)
	v_cvt_u32_f32_e32 v1, v1
	v_readfirstlane_b32 s3, v2
	s_delay_alu instid0(VALU_DEP_2) | instskip(NEXT) | instid1(VALU_DEP_2)
	v_readfirstlane_b32 s8, v1
	s_mul_i32 s11, s9, s3
	s_delay_alu instid0(VALU_DEP_1)
	s_mul_hi_u32 s15, s9, s8
	s_mul_i32 s12, s10, s8
	s_add_i32 s11, s15, s11
	s_mul_i32 s16, s9, s8
	s_add_i32 s11, s11, s12
	s_mul_hi_u32 s15, s8, s16
	s_mul_hi_u32 s17, s3, s16
	s_mul_i32 s12, s3, s16
	s_mul_hi_u32 s16, s8, s11
	s_mul_i32 s8, s8, s11
	s_mul_hi_u32 s18, s3, s11
	s_add_u32 s8, s15, s8
	s_addc_u32 s15, 0, s16
	s_add_u32 s8, s8, s12
	s_mul_i32 s11, s3, s11
	s_addc_u32 s8, s15, s17
	s_addc_u32 s12, s18, 0
	s_add_u32 s8, s8, s11
	s_addc_u32 s11, 0, s12
	v_add_co_u32 v1, s8, v1, s8
	s_delay_alu instid0(VALU_DEP_1) | instskip(SKIP_1) | instid1(VALU_DEP_1)
	s_cmp_lg_u32 s8, 0
	s_addc_u32 s3, s3, s11
	v_readfirstlane_b32 s8, v1
	s_mul_i32 s11, s9, s3
	s_delay_alu instid0(VALU_DEP_1)
	s_mul_hi_u32 s12, s9, s8
	s_mul_i32 s10, s10, s8
	s_add_i32 s11, s12, s11
	s_mul_i32 s9, s9, s8
	s_add_i32 s11, s11, s10
	s_mul_hi_u32 s12, s3, s9
	s_mul_i32 s15, s3, s9
	s_mul_hi_u32 s9, s8, s9
	s_mul_hi_u32 s16, s8, s11
	s_mul_i32 s8, s8, s11
	s_mul_hi_u32 s10, s3, s11
	s_add_u32 s8, s9, s8
	s_addc_u32 s9, 0, s16
	s_add_u32 s8, s8, s15
	s_mul_i32 s11, s3, s11
	s_addc_u32 s8, s9, s12
	s_addc_u32 s9, s10, 0
	s_add_u32 s8, s8, s11
	s_addc_u32 s9, 0, s9
	v_add_co_u32 v1, s8, v1, s8
	s_delay_alu instid0(VALU_DEP_1) | instskip(SKIP_2) | instid1(VALU_DEP_1)
	s_cmp_lg_u32 s8, 0
	s_addc_u32 s3, s3, s9
	s_ashr_i32 s8, s21, 31
	v_readfirstlane_b32 s12, v1
	s_add_u32 s10, s20, s8
	s_mov_b32 s9, s8
	s_addc_u32 s11, s21, s8
	s_delay_alu instid0(SALU_CYCLE_1) | instskip(NEXT) | instid1(SALU_CYCLE_1)
	s_xor_b64 s[10:11], s[10:11], s[8:9]
	s_mul_i32 s16, s10, s3
	s_mul_hi_u32 s17, s10, s12
	s_mul_hi_u32 s15, s10, s3
	;; [unrolled: 1-line block ×3, first 2 shown]
	s_mul_i32 s12, s11, s12
	s_add_u32 s16, s17, s16
	s_addc_u32 s15, 0, s15
	s_mul_hi_u32 s18, s11, s3
	s_add_u32 s12, s16, s12
	s_mul_i32 s3, s11, s3
	s_addc_u32 s12, s15, s19
	s_addc_u32 s15, s18, 0
	s_add_u32 s3, s12, s3
	s_addc_u32 s12, 0, s15
	s_mul_i32 s18, s6, s3
	s_mul_hi_u32 s15, s6, s3
	s_mul_i32 s17, s6, s12
	v_sub_co_u32 v1, s10, s10, s18
	s_mul_i32 s16, s7, s3
	s_add_i32 s15, s15, s17
	s_delay_alu instid0(SALU_CYCLE_1) | instskip(NEXT) | instid1(VALU_DEP_1)
	s_add_i32 s15, s15, s16
	v_sub_co_u32 v2, s17, v1, s6
	s_sub_i32 s16, s11, s15
	s_cmp_lg_u32 s10, 0
	s_subb_u32 s16, s16, s7
	s_cmp_lg_u32 s17, 0
	v_readfirstlane_b32 s17, v2
	s_subb_u32 s16, s16, 0
	s_delay_alu instid0(SALU_CYCLE_1) | instskip(SKIP_1) | instid1(VALU_DEP_1)
	s_cmp_ge_u32 s16, s7
	s_cselect_b32 s18, -1, 0
	s_cmp_ge_u32 s17, s6
	s_cselect_b32 s17, -1, 0
	s_cmp_eq_u32 s16, s7
	s_cselect_b32 s16, s17, s18
	s_add_u32 s17, s3, 1
	s_addc_u32 s18, s12, 0
	s_add_u32 s19, s3, 2
	s_addc_u32 s24, s12, 0
	s_cmp_lg_u32 s16, 0
	s_cselect_b32 s16, s19, s17
	s_cselect_b32 s17, s24, s18
	s_cmp_lg_u32 s10, 0
	v_readfirstlane_b32 s10, v1
	s_subb_u32 s11, s11, s15
	s_delay_alu instid0(SALU_CYCLE_1) | instskip(SKIP_1) | instid1(VALU_DEP_1)
	s_cmp_ge_u32 s11, s7
	s_cselect_b32 s15, -1, 0
	s_cmp_ge_u32 s10, s6
	s_cselect_b32 s6, -1, 0
	s_cmp_eq_u32 s11, s7
	s_cselect_b32 s6, s6, s15
	s_delay_alu instid0(SALU_CYCLE_1) | instskip(SKIP_3) | instid1(SALU_CYCLE_1)
	s_cmp_lg_u32 s6, 0
	s_cselect_b32 s7, s17, s12
	s_cselect_b32 s6, s16, s3
	s_xor_b64 s[4:5], s[8:9], s[4:5]
	s_xor_b64 s[6:7], s[6:7], s[4:5]
	s_delay_alu instid0(SALU_CYCLE_1)
	s_sub_u32 s24, s6, s4
	s_subb_u32 s25, s7, s5
	s_load_b32 s3, s[0:1], 0xc4
	s_and_not1_b32 vcc_lo, exec_lo, s2
	s_cbranch_vccnz .LBB10_3
.LBB10_2:
	v_cvt_f32_u32_e32 v1, s22
	s_sub_i32 s4, 0, s22
	s_mov_b32 s25, 0
	s_delay_alu instid0(VALU_DEP_1) | instskip(SKIP_2) | instid1(VALU_DEP_1)
	v_rcp_iflag_f32_e32 v1, v1
	s_waitcnt_depctr 0xfff
	v_mul_f32_e32 v1, 0x4f7ffffe, v1
	v_cvt_u32_f32_e32 v1, v1
	s_delay_alu instid0(VALU_DEP_1) | instskip(NEXT) | instid1(VALU_DEP_1)
	v_readfirstlane_b32 s2, v1
	s_mul_i32 s4, s4, s2
	s_delay_alu instid0(SALU_CYCLE_1) | instskip(NEXT) | instid1(SALU_CYCLE_1)
	s_mul_hi_u32 s4, s2, s4
	s_add_i32 s2, s2, s4
	s_delay_alu instid0(SALU_CYCLE_1) | instskip(NEXT) | instid1(SALU_CYCLE_1)
	s_mul_hi_u32 s2, s20, s2
	s_mul_i32 s4, s2, s22
	s_add_i32 s5, s2, 1
	s_sub_i32 s4, s20, s4
	s_delay_alu instid0(SALU_CYCLE_1)
	s_sub_i32 s6, s4, s22
	s_cmp_ge_u32 s4, s22
	s_cselect_b32 s2, s5, s2
	s_cselect_b32 s4, s6, s4
	s_add_i32 s5, s2, 1
	s_cmp_ge_u32 s4, s22
	s_cselect_b32 s24, s5, s2
.LBB10_3:
	s_load_b128 s[4:7], s[0:1], 0x18
	v_bfe_u32 v1, v0, 10, 10
	v_dual_mov_b32 v5, 0 :: v_dual_and_b32 v4, 0x3ff, v0
	s_waitcnt lgkmcnt(0)
	s_lshr_b32 s2, s3, 16
	s_and_b32 s3, s3, 0xffff
	v_mad_u64_u32 v[2:3], null, s14, s2, v[1:2]
	v_mad_u64_u32 v[0:1], null, s3, s13, v[4:5]
	v_mov_b32_e32 v3, v5
	s_delay_alu instid0(VALU_DEP_1) | instskip(NEXT) | instid1(VALU_DEP_3)
	v_cmp_gt_i64_e32 vcc_lo, s[4:5], v[2:3]
	v_cmp_gt_i64_e64 s2, s[6:7], v[0:1]
	s_delay_alu instid0(VALU_DEP_1) | instskip(NEXT) | instid1(SALU_CYCLE_1)
	s_and_b32 s2, vcc_lo, s2
	s_and_saveexec_b32 s3, s2
	s_cbranch_execz .LBB10_7
; %bb.4:
	s_clause 0x1
	s_load_b256 s[4:11], s[0:1], 0x90
	s_load_b256 s[12:19], s[0:1], 0x70
	s_mul_i32 s2, s24, s23
	s_mul_hi_u32 s3, s24, s22
	s_mul_i32 s26, s25, s22
	s_mul_i32 s27, s24, s22
	s_load_b64 s[22:23], s[0:1], 0x48
	s_add_i32 s2, s3, s2
	s_delay_alu instid0(SALU_CYCLE_1)
	s_add_i32 s2, s2, s26
	s_waitcnt lgkmcnt(0)
	s_mul_i32 s3, s8, s7
	v_mad_u64_u32 v[3:4], null, s16, v2, 0
	s_mul_hi_u32 s7, s8, s6
	s_mul_i32 s9, s9, s6
	s_mul_i32 s6, s8, s6
	s_add_i32 s3, s7, s3
	s_mul_i32 s7, s6, s11
	s_mul_hi_u32 s8, s6, s10
	s_add_i32 s3, s3, s9
	s_add_i32 s7, s8, s7
	s_mul_i32 s3, s3, s10
	v_mad_u64_u32 v[5:6], null, s17, v2, v[4:5]
	s_mul_i32 s26, s12, s25
	s_mul_hi_u32 s28, s12, s24
	s_add_i32 s7, s7, s3
	s_sub_u32 s3, s20, s27
	s_mul_i32 s13, s13, s24
	s_subb_u32 s8, s21, s2
	s_add_i32 s2, s28, s26
	v_mul_lo_u32 v8, s19, v0
	v_mul_lo_u32 v9, s18, v1
	v_mad_u64_u32 v[6:7], null, s18, v0, 0
	s_mul_i32 s12, s12, s24
	s_add_i32 s13, s2, s13
	v_mov_b32_e32 v4, v5
	s_lshl_b64 s[12:13], s[12:13], 3
	s_mul_hi_u32 s2, s14, s3
	s_mul_i32 s9, s14, s8
	s_add_u32 s11, s22, s12
	s_addc_u32 s16, s23, s13
	s_add_i32 s2, s2, s9
	s_mul_i32 s9, s15, s3
	s_mul_i32 s12, s14, s3
	s_add_i32 s13, s2, s9
	v_add3_u32 v7, v7, v9, v8
	v_lshlrev_b64 v[3:4], 3, v[3:4]
	s_lshl_b64 s[12:13], s[12:13], 3
	s_mul_i32 s6, s6, s10
	s_add_u32 s2, s11, s12
	v_lshlrev_b64 v[5:6], 3, v[6:7]
	s_addc_u32 s9, s16, s13
	v_add_co_u32 v3, vcc_lo, s2, v3
	v_add_co_ci_u32_e32 v4, vcc_lo, s9, v4, vcc_lo
	s_delay_alu instid0(VALU_DEP_2) | instskip(NEXT) | instid1(VALU_DEP_2)
	v_add_co_u32 v3, vcc_lo, v3, v5
	v_add_co_ci_u32_e32 v4, vcc_lo, v4, v6, vcc_lo
	global_load_b64 v[3:4], v[3:4], off
	s_waitcnt vmcnt(0)
	v_cmp_lt_i64_e32 vcc_lo, -1, v[3:4]
	v_cmp_gt_i64_e64 s2, s[6:7], v[3:4]
	s_delay_alu instid0(VALU_DEP_1) | instskip(NEXT) | instid1(SALU_CYCLE_1)
	s_and_b32 s2, vcc_lo, s2
	s_and_saveexec_b32 s9, s2
	s_delay_alu instid0(SALU_CYCLE_1)
	s_xor_b32 s2, exec_lo, s9
	s_cbranch_execz .LBB10_6
; %bb.5:
	s_clause 0x1
	s_load_b256 s[12:19], s[0:1], 0x28
	s_load_b64 s[0:1], s[0:1], 0x0
	s_waitcnt lgkmcnt(0)
	s_mul_i32 s9, s12, s25
	s_mul_hi_u32 s10, s12, s24
	s_mul_i32 s11, s13, s24
	s_add_i32 s9, s10, s9
	s_mul_i32 s12, s12, s24
	s_mul_i32 s8, s14, s8
	s_mul_hi_u32 s13, s14, s3
	s_add_i32 s9, s9, s11
	s_add_u32 s0, s0, s12
	s_mul_i32 s10, s15, s3
	s_addc_u32 s1, s1, s9
	s_add_i32 s8, s13, s8
	s_mul_i32 s3, s14, s3
	s_add_i32 s8, s8, s10
	s_add_u32 s0, s0, s3
	s_addc_u32 s1, s1, s8
	s_mul_i32 s3, s6, s24
	v_mad_u64_u32 v[5:6], null, s16, v2, s[0:1]
	s_mul_i32 s0, s6, s25
	s_mul_hi_u32 s1, s6, s24
	s_delay_alu instid0(SALU_CYCLE_1) | instskip(SKIP_1) | instid1(VALU_DEP_1)
	s_add_i32 s0, s1, s0
	s_mul_i32 s1, s7, s24
	v_mad_u64_u32 v[7:8], null, s17, v2, v[6:7]
	s_add_i32 s0, s0, s1
	s_add_u32 s1, s4, s3
	s_addc_u32 s0, s5, s0
	s_delay_alu instid0(VALU_DEP_1) | instskip(SKIP_1) | instid1(VALU_DEP_2)
	v_mov_b32_e32 v6, v7
	v_mul_lo_u32 v7, s18, v1
	v_mad_u64_u32 v[1:2], null, s18, v0, v[5:6]
	v_mul_lo_u32 v0, s19, v0
	s_delay_alu instid0(VALU_DEP_1)
	v_add3_u32 v2, v0, v2, v7
	v_add_co_u32 v0, vcc_lo, s1, v3
	global_load_u8 v2, v[1:2], off
	v_add_co_ci_u32_e32 v1, vcc_lo, s0, v4, vcc_lo
	s_waitcnt vmcnt(0)
	global_store_b8 v[0:1], v2, off
.LBB10_6:
	s_and_not1_saveexec_b32 s0, s2
	s_cbranch_execnz .LBB10_9
.LBB10_7:
	s_nop 0
	s_sendmsg sendmsg(MSG_DEALLOC_VGPRS)
	s_endpgm
.LBB10_8:
                                        ; implicit-def: $sgpr24_sgpr25
	s_load_b32 s3, s[0:1], 0xc4
	s_branch .LBB10_2
.LBB10_9:
	s_cbranch_execnz .LBB10_11
; %bb.10:
	; divergent unreachable
	s_nop 0
	s_sendmsg sendmsg(MSG_DEALLOC_VGPRS)
	s_endpgm
.LBB10_11:
	s_trap 2
	s_sendmsg_rtn_b32 s0, sendmsg(MSG_RTN_GET_DOORBELL)
	s_mov_b32 ttmp2, m0
	s_waitcnt lgkmcnt(0)
	s_and_b32 s0, s0, 0x3ff
	s_delay_alu instid0(SALU_CYCLE_1) | instskip(NEXT) | instid1(SALU_CYCLE_1)
	s_bitset1_b32 s0, 10
	s_mov_b32 m0, s0
	s_sendmsg sendmsg(MSG_INTERRUPT)
	s_mov_b32 m0, ttmp2
.LBB10_12:                              ; =>This Inner Loop Header: Depth=1
	s_sethalt 5
	s_branch .LBB10_12
	.section	.rodata,"a",@progbits
	.p2align	6, 0x0
	.amdhsa_kernel _ZN2at6native30max_unpooling3d_forward_kernelIaEEvN5torch10headeronly6detail27GenericPackedTensorAccessorINS4_14TensorAccessorIN3c108ArrayRefIlEEKT_Lm3ENS3_16DefaultPtrTraitsElEENS_6detail16IndexBoundsCheckILm4ElEESB_Lm4ESC_lEENS5_INS6_IS9_KlLm3ESC_lEESG_SI_Lm4ESC_lEEPSA_llll
		.amdhsa_group_segment_fixed_size 0
		.amdhsa_private_segment_fixed_size 0
		.amdhsa_kernarg_size 440
		.amdhsa_user_sgpr_count 13
		.amdhsa_user_sgpr_dispatch_ptr 0
		.amdhsa_user_sgpr_queue_ptr 0
		.amdhsa_user_sgpr_kernarg_segment_ptr 1
		.amdhsa_user_sgpr_dispatch_id 0
		.amdhsa_user_sgpr_private_segment_size 0
		.amdhsa_wavefront_size32 1
		.amdhsa_uses_dynamic_stack 0
		.amdhsa_enable_private_segment 0
		.amdhsa_system_sgpr_workgroup_id_x 1
		.amdhsa_system_sgpr_workgroup_id_y 1
		.amdhsa_system_sgpr_workgroup_id_z 1
		.amdhsa_system_sgpr_workgroup_info 0
		.amdhsa_system_vgpr_workitem_id 1
		.amdhsa_next_free_vgpr 10
		.amdhsa_next_free_sgpr 29
		.amdhsa_reserve_vcc 1
		.amdhsa_float_round_mode_32 0
		.amdhsa_float_round_mode_16_64 0
		.amdhsa_float_denorm_mode_32 3
		.amdhsa_float_denorm_mode_16_64 3
		.amdhsa_dx10_clamp 1
		.amdhsa_ieee_mode 1
		.amdhsa_fp16_overflow 0
		.amdhsa_workgroup_processor_mode 1
		.amdhsa_memory_ordered 1
		.amdhsa_forward_progress 0
		.amdhsa_shared_vgpr_count 0
		.amdhsa_exception_fp_ieee_invalid_op 0
		.amdhsa_exception_fp_denorm_src 0
		.amdhsa_exception_fp_ieee_div_zero 0
		.amdhsa_exception_fp_ieee_overflow 0
		.amdhsa_exception_fp_ieee_underflow 0
		.amdhsa_exception_fp_ieee_inexact 0
		.amdhsa_exception_int_div_zero 0
	.end_amdhsa_kernel
	.section	.text._ZN2at6native30max_unpooling3d_forward_kernelIaEEvN5torch10headeronly6detail27GenericPackedTensorAccessorINS4_14TensorAccessorIN3c108ArrayRefIlEEKT_Lm3ENS3_16DefaultPtrTraitsElEENS_6detail16IndexBoundsCheckILm4ElEESB_Lm4ESC_lEENS5_INS6_IS9_KlLm3ESC_lEESG_SI_Lm4ESC_lEEPSA_llll,"axG",@progbits,_ZN2at6native30max_unpooling3d_forward_kernelIaEEvN5torch10headeronly6detail27GenericPackedTensorAccessorINS4_14TensorAccessorIN3c108ArrayRefIlEEKT_Lm3ENS3_16DefaultPtrTraitsElEENS_6detail16IndexBoundsCheckILm4ElEESB_Lm4ESC_lEENS5_INS6_IS9_KlLm3ESC_lEESG_SI_Lm4ESC_lEEPSA_llll,comdat
.Lfunc_end10:
	.size	_ZN2at6native30max_unpooling3d_forward_kernelIaEEvN5torch10headeronly6detail27GenericPackedTensorAccessorINS4_14TensorAccessorIN3c108ArrayRefIlEEKT_Lm3ENS3_16DefaultPtrTraitsElEENS_6detail16IndexBoundsCheckILm4ElEESB_Lm4ESC_lEENS5_INS6_IS9_KlLm3ESC_lEESG_SI_Lm4ESC_lEEPSA_llll, .Lfunc_end10-_ZN2at6native30max_unpooling3d_forward_kernelIaEEvN5torch10headeronly6detail27GenericPackedTensorAccessorINS4_14TensorAccessorIN3c108ArrayRefIlEEKT_Lm3ENS3_16DefaultPtrTraitsElEENS_6detail16IndexBoundsCheckILm4ElEESB_Lm4ESC_lEENS5_INS6_IS9_KlLm3ESC_lEESG_SI_Lm4ESC_lEEPSA_llll
                                        ; -- End function
	.section	.AMDGPU.csdata,"",@progbits
; Kernel info:
; codeLenInByte = 1540
; NumSgprs: 31
; NumVgprs: 10
; ScratchSize: 0
; MemoryBound: 0
; FloatMode: 240
; IeeeMode: 1
; LDSByteSize: 0 bytes/workgroup (compile time only)
; SGPRBlocks: 3
; VGPRBlocks: 1
; NumSGPRsForWavesPerEU: 31
; NumVGPRsForWavesPerEU: 10
; Occupancy: 16
; WaveLimiterHint : 1
; COMPUTE_PGM_RSRC2:SCRATCH_EN: 0
; COMPUTE_PGM_RSRC2:USER_SGPR: 13
; COMPUTE_PGM_RSRC2:TRAP_HANDLER: 0
; COMPUTE_PGM_RSRC2:TGID_X_EN: 1
; COMPUTE_PGM_RSRC2:TGID_Y_EN: 1
; COMPUTE_PGM_RSRC2:TGID_Z_EN: 1
; COMPUTE_PGM_RSRC2:TIDIG_COMP_CNT: 1
	.section	.text._ZN2at6native30max_unpooling3d_forward_kernelIiEEvN5torch10headeronly6detail27GenericPackedTensorAccessorINS4_14TensorAccessorIN3c108ArrayRefIlEEKT_Lm3ENS3_16DefaultPtrTraitsElEENS_6detail16IndexBoundsCheckILm4ElEESB_Lm4ESC_lEENS5_INS6_IS9_KlLm3ESC_lEESG_SI_Lm4ESC_lEEPSA_llll,"axG",@progbits,_ZN2at6native30max_unpooling3d_forward_kernelIiEEvN5torch10headeronly6detail27GenericPackedTensorAccessorINS4_14TensorAccessorIN3c108ArrayRefIlEEKT_Lm3ENS3_16DefaultPtrTraitsElEENS_6detail16IndexBoundsCheckILm4ElEESB_Lm4ESC_lEENS5_INS6_IS9_KlLm3ESC_lEESG_SI_Lm4ESC_lEEPSA_llll,comdat
	.protected	_ZN2at6native30max_unpooling3d_forward_kernelIiEEvN5torch10headeronly6detail27GenericPackedTensorAccessorINS4_14TensorAccessorIN3c108ArrayRefIlEEKT_Lm3ENS3_16DefaultPtrTraitsElEENS_6detail16IndexBoundsCheckILm4ElEESB_Lm4ESC_lEENS5_INS6_IS9_KlLm3ESC_lEESG_SI_Lm4ESC_lEEPSA_llll ; -- Begin function _ZN2at6native30max_unpooling3d_forward_kernelIiEEvN5torch10headeronly6detail27GenericPackedTensorAccessorINS4_14TensorAccessorIN3c108ArrayRefIlEEKT_Lm3ENS3_16DefaultPtrTraitsElEENS_6detail16IndexBoundsCheckILm4ElEESB_Lm4ESC_lEENS5_INS6_IS9_KlLm3ESC_lEESG_SI_Lm4ESC_lEEPSA_llll
	.globl	_ZN2at6native30max_unpooling3d_forward_kernelIiEEvN5torch10headeronly6detail27GenericPackedTensorAccessorINS4_14TensorAccessorIN3c108ArrayRefIlEEKT_Lm3ENS3_16DefaultPtrTraitsElEENS_6detail16IndexBoundsCheckILm4ElEESB_Lm4ESC_lEENS5_INS6_IS9_KlLm3ESC_lEESG_SI_Lm4ESC_lEEPSA_llll
	.p2align	8
	.type	_ZN2at6native30max_unpooling3d_forward_kernelIiEEvN5torch10headeronly6detail27GenericPackedTensorAccessorINS4_14TensorAccessorIN3c108ArrayRefIlEEKT_Lm3ENS3_16DefaultPtrTraitsElEENS_6detail16IndexBoundsCheckILm4ElEESB_Lm4ESC_lEENS5_INS6_IS9_KlLm3ESC_lEESG_SI_Lm4ESC_lEEPSA_llll,@function
_ZN2at6native30max_unpooling3d_forward_kernelIiEEvN5torch10headeronly6detail27GenericPackedTensorAccessorINS4_14TensorAccessorIN3c108ArrayRefIlEEKT_Lm3ENS3_16DefaultPtrTraitsElEENS_6detail16IndexBoundsCheckILm4ElEESB_Lm4ESC_lEENS5_INS6_IS9_KlLm3ESC_lEESG_SI_Lm4ESC_lEEPSA_llll: ; @_ZN2at6native30max_unpooling3d_forward_kernelIiEEvN5torch10headeronly6detail27GenericPackedTensorAccessorINS4_14TensorAccessorIN3c108ArrayRefIlEEKT_Lm3ENS3_16DefaultPtrTraitsElEENS_6detail16IndexBoundsCheckILm4ElEESB_Lm4ESC_lEENS5_INS6_IS9_KlLm3ESC_lEESG_SI_Lm4ESC_lEEPSA_llll
; %bb.0:
	s_clause 0x1
	s_load_b64 s[2:3], s[0:1], 0xb0
	s_load_b64 s[22:23], s[0:1], 0x10
	s_waitcnt lgkmcnt(0)
	s_add_u32 s20, s15, s2
	s_addc_u32 s21, 0, s3
	s_delay_alu instid0(SALU_CYCLE_1) | instskip(SKIP_1) | instid1(SALU_CYCLE_1)
	s_or_b64 s[2:3], s[20:21], s[22:23]
	s_mov_b32 s2, 0
	s_cmp_lg_u64 s[2:3], 0
	s_cbranch_scc0 .LBB11_8
; %bb.1:
	s_ashr_i32 s4, s23, 31
	s_delay_alu instid0(SALU_CYCLE_1) | instskip(SKIP_2) | instid1(SALU_CYCLE_1)
	s_add_u32 s6, s22, s4
	s_mov_b32 s5, s4
	s_addc_u32 s7, s23, s4
	s_xor_b64 s[6:7], s[6:7], s[4:5]
	s_delay_alu instid0(SALU_CYCLE_1) | instskip(SKIP_3) | instid1(VALU_DEP_1)
	v_cvt_f32_u32_e32 v1, s6
	v_cvt_f32_u32_e32 v2, s7
	s_sub_u32 s9, 0, s6
	s_subb_u32 s10, 0, s7
	v_fmamk_f32 v1, v2, 0x4f800000, v1
	s_delay_alu instid0(VALU_DEP_1) | instskip(SKIP_2) | instid1(VALU_DEP_1)
	v_rcp_f32_e32 v1, v1
	s_waitcnt_depctr 0xfff
	v_mul_f32_e32 v1, 0x5f7ffffc, v1
	v_mul_f32_e32 v2, 0x2f800000, v1
	s_delay_alu instid0(VALU_DEP_1) | instskip(NEXT) | instid1(VALU_DEP_1)
	v_trunc_f32_e32 v2, v2
	v_fmamk_f32 v1, v2, 0xcf800000, v1
	v_cvt_u32_f32_e32 v2, v2
	s_delay_alu instid0(VALU_DEP_2) | instskip(NEXT) | instid1(VALU_DEP_2)
	v_cvt_u32_f32_e32 v1, v1
	v_readfirstlane_b32 s3, v2
	s_delay_alu instid0(VALU_DEP_2) | instskip(NEXT) | instid1(VALU_DEP_2)
	v_readfirstlane_b32 s8, v1
	s_mul_i32 s11, s9, s3
	s_delay_alu instid0(VALU_DEP_1)
	s_mul_hi_u32 s15, s9, s8
	s_mul_i32 s12, s10, s8
	s_add_i32 s11, s15, s11
	s_mul_i32 s16, s9, s8
	s_add_i32 s11, s11, s12
	s_mul_hi_u32 s15, s8, s16
	s_mul_hi_u32 s17, s3, s16
	s_mul_i32 s12, s3, s16
	s_mul_hi_u32 s16, s8, s11
	s_mul_i32 s8, s8, s11
	s_mul_hi_u32 s18, s3, s11
	s_add_u32 s8, s15, s8
	s_addc_u32 s15, 0, s16
	s_add_u32 s8, s8, s12
	s_mul_i32 s11, s3, s11
	s_addc_u32 s8, s15, s17
	s_addc_u32 s12, s18, 0
	s_add_u32 s8, s8, s11
	s_addc_u32 s11, 0, s12
	v_add_co_u32 v1, s8, v1, s8
	s_delay_alu instid0(VALU_DEP_1) | instskip(SKIP_1) | instid1(VALU_DEP_1)
	s_cmp_lg_u32 s8, 0
	s_addc_u32 s3, s3, s11
	v_readfirstlane_b32 s8, v1
	s_mul_i32 s11, s9, s3
	s_delay_alu instid0(VALU_DEP_1)
	s_mul_hi_u32 s12, s9, s8
	s_mul_i32 s10, s10, s8
	s_add_i32 s11, s12, s11
	s_mul_i32 s9, s9, s8
	s_add_i32 s11, s11, s10
	s_mul_hi_u32 s12, s3, s9
	s_mul_i32 s15, s3, s9
	s_mul_hi_u32 s9, s8, s9
	s_mul_hi_u32 s16, s8, s11
	s_mul_i32 s8, s8, s11
	s_mul_hi_u32 s10, s3, s11
	s_add_u32 s8, s9, s8
	s_addc_u32 s9, 0, s16
	s_add_u32 s8, s8, s15
	s_mul_i32 s11, s3, s11
	s_addc_u32 s8, s9, s12
	s_addc_u32 s9, s10, 0
	s_add_u32 s8, s8, s11
	s_addc_u32 s9, 0, s9
	v_add_co_u32 v1, s8, v1, s8
	s_delay_alu instid0(VALU_DEP_1) | instskip(SKIP_2) | instid1(VALU_DEP_1)
	s_cmp_lg_u32 s8, 0
	s_addc_u32 s3, s3, s9
	s_ashr_i32 s8, s21, 31
	v_readfirstlane_b32 s12, v1
	s_add_u32 s10, s20, s8
	s_mov_b32 s9, s8
	s_addc_u32 s11, s21, s8
	s_delay_alu instid0(SALU_CYCLE_1) | instskip(NEXT) | instid1(SALU_CYCLE_1)
	s_xor_b64 s[10:11], s[10:11], s[8:9]
	s_mul_i32 s16, s10, s3
	s_mul_hi_u32 s17, s10, s12
	s_mul_hi_u32 s15, s10, s3
	;; [unrolled: 1-line block ×3, first 2 shown]
	s_mul_i32 s12, s11, s12
	s_add_u32 s16, s17, s16
	s_addc_u32 s15, 0, s15
	s_mul_hi_u32 s18, s11, s3
	s_add_u32 s12, s16, s12
	s_mul_i32 s3, s11, s3
	s_addc_u32 s12, s15, s19
	s_addc_u32 s15, s18, 0
	s_add_u32 s3, s12, s3
	s_addc_u32 s12, 0, s15
	s_mul_i32 s18, s6, s3
	s_mul_hi_u32 s15, s6, s3
	s_mul_i32 s17, s6, s12
	v_sub_co_u32 v1, s10, s10, s18
	s_mul_i32 s16, s7, s3
	s_add_i32 s15, s15, s17
	s_delay_alu instid0(SALU_CYCLE_1) | instskip(NEXT) | instid1(VALU_DEP_1)
	s_add_i32 s15, s15, s16
	v_sub_co_u32 v2, s17, v1, s6
	s_sub_i32 s16, s11, s15
	s_cmp_lg_u32 s10, 0
	s_subb_u32 s16, s16, s7
	s_cmp_lg_u32 s17, 0
	v_readfirstlane_b32 s17, v2
	s_subb_u32 s16, s16, 0
	s_delay_alu instid0(SALU_CYCLE_1) | instskip(SKIP_1) | instid1(VALU_DEP_1)
	s_cmp_ge_u32 s16, s7
	s_cselect_b32 s18, -1, 0
	s_cmp_ge_u32 s17, s6
	s_cselect_b32 s17, -1, 0
	s_cmp_eq_u32 s16, s7
	s_cselect_b32 s16, s17, s18
	s_add_u32 s17, s3, 1
	s_addc_u32 s18, s12, 0
	s_add_u32 s19, s3, 2
	s_addc_u32 s24, s12, 0
	s_cmp_lg_u32 s16, 0
	s_cselect_b32 s16, s19, s17
	s_cselect_b32 s17, s24, s18
	s_cmp_lg_u32 s10, 0
	v_readfirstlane_b32 s10, v1
	s_subb_u32 s11, s11, s15
	s_delay_alu instid0(SALU_CYCLE_1) | instskip(SKIP_1) | instid1(VALU_DEP_1)
	s_cmp_ge_u32 s11, s7
	s_cselect_b32 s15, -1, 0
	s_cmp_ge_u32 s10, s6
	s_cselect_b32 s6, -1, 0
	s_cmp_eq_u32 s11, s7
	s_cselect_b32 s6, s6, s15
	s_delay_alu instid0(SALU_CYCLE_1) | instskip(SKIP_3) | instid1(SALU_CYCLE_1)
	s_cmp_lg_u32 s6, 0
	s_cselect_b32 s7, s17, s12
	s_cselect_b32 s6, s16, s3
	s_xor_b64 s[4:5], s[8:9], s[4:5]
	s_xor_b64 s[6:7], s[6:7], s[4:5]
	s_delay_alu instid0(SALU_CYCLE_1)
	s_sub_u32 s24, s6, s4
	s_subb_u32 s25, s7, s5
	s_load_b32 s3, s[0:1], 0xc4
	s_and_not1_b32 vcc_lo, exec_lo, s2
	s_cbranch_vccnz .LBB11_3
.LBB11_2:
	v_cvt_f32_u32_e32 v1, s22
	s_sub_i32 s4, 0, s22
	s_mov_b32 s25, 0
	s_delay_alu instid0(VALU_DEP_1) | instskip(SKIP_2) | instid1(VALU_DEP_1)
	v_rcp_iflag_f32_e32 v1, v1
	s_waitcnt_depctr 0xfff
	v_mul_f32_e32 v1, 0x4f7ffffe, v1
	v_cvt_u32_f32_e32 v1, v1
	s_delay_alu instid0(VALU_DEP_1) | instskip(NEXT) | instid1(VALU_DEP_1)
	v_readfirstlane_b32 s2, v1
	s_mul_i32 s4, s4, s2
	s_delay_alu instid0(SALU_CYCLE_1) | instskip(NEXT) | instid1(SALU_CYCLE_1)
	s_mul_hi_u32 s4, s2, s4
	s_add_i32 s2, s2, s4
	s_delay_alu instid0(SALU_CYCLE_1) | instskip(NEXT) | instid1(SALU_CYCLE_1)
	s_mul_hi_u32 s2, s20, s2
	s_mul_i32 s4, s2, s22
	s_add_i32 s5, s2, 1
	s_sub_i32 s4, s20, s4
	s_delay_alu instid0(SALU_CYCLE_1)
	s_sub_i32 s6, s4, s22
	s_cmp_ge_u32 s4, s22
	s_cselect_b32 s2, s5, s2
	s_cselect_b32 s4, s6, s4
	s_add_i32 s5, s2, 1
	s_cmp_ge_u32 s4, s22
	s_cselect_b32 s24, s5, s2
.LBB11_3:
	s_load_b128 s[4:7], s[0:1], 0x18
	v_bfe_u32 v2, v0, 10, 10
	v_dual_mov_b32 v5, 0 :: v_dual_and_b32 v4, 0x3ff, v0
	s_waitcnt lgkmcnt(0)
	s_lshr_b32 s2, s3, 16
	s_and_b32 s3, s3, 0xffff
	v_mad_u64_u32 v[0:1], null, s14, s2, v[2:3]
	v_mad_u64_u32 v[2:3], null, s3, s13, v[4:5]
	v_mov_b32_e32 v1, v5
	s_delay_alu instid0(VALU_DEP_1) | instskip(NEXT) | instid1(VALU_DEP_3)
	v_cmp_gt_i64_e32 vcc_lo, s[4:5], v[0:1]
	v_cmp_gt_i64_e64 s2, s[6:7], v[2:3]
	s_delay_alu instid0(VALU_DEP_1) | instskip(NEXT) | instid1(SALU_CYCLE_1)
	s_and_b32 s2, vcc_lo, s2
	s_and_saveexec_b32 s3, s2
	s_cbranch_execz .LBB11_7
; %bb.4:
	s_clause 0x1
	s_load_b256 s[4:11], s[0:1], 0x90
	s_load_b256 s[12:19], s[0:1], 0x70
	s_mul_i32 s2, s24, s23
	s_mul_hi_u32 s3, s24, s22
	s_mul_i32 s26, s25, s22
	s_mul_i32 s27, s24, s22
	s_load_b64 s[22:23], s[0:1], 0x48
	s_add_i32 s2, s3, s2
	s_delay_alu instid0(SALU_CYCLE_1)
	s_add_i32 s2, s2, s26
	s_waitcnt lgkmcnt(0)
	s_mul_i32 s3, s8, s7
	v_mad_u64_u32 v[4:5], null, s16, v0, 0
	s_mul_hi_u32 s7, s8, s6
	s_mul_i32 s9, s9, s6
	s_mul_i32 s6, s8, s6
	s_add_i32 s3, s7, s3
	s_mul_i32 s7, s6, s11
	s_mul_hi_u32 s8, s6, s10
	s_add_i32 s3, s3, s9
	v_mov_b32_e32 v1, v5
	s_add_i32 s7, s8, s7
	s_mul_i32 s3, s3, s10
	s_mul_i32 s26, s12, s25
	s_mul_hi_u32 s28, s12, s24
	s_add_i32 s7, s7, s3
	s_sub_u32 s3, s20, s27
	s_mul_i32 s13, s13, s24
	s_subb_u32 s16, s21, s2
	s_add_i32 s2, s28, s26
	v_mad_u64_u32 v[5:6], null, s17, v0, v[1:2]
	v_mul_lo_u32 v1, s19, v2
	v_mul_lo_u32 v8, s18, v3
	v_mad_u64_u32 v[6:7], null, s18, v2, 0
	s_mul_i32 s8, s12, s24
	s_add_i32 s9, s2, s13
	s_mul_hi_u32 s2, s14, s3
	s_lshl_b64 s[8:9], s[8:9], 3
	s_mul_i32 s11, s14, s16
	s_add_u32 s12, s22, s8
	s_addc_u32 s13, s23, s9
	s_add_i32 s2, s2, s11
	s_mul_i32 s8, s15, s3
	v_add3_u32 v7, v7, v8, v1
	s_add_i32 s9, s2, s8
	s_mul_i32 s8, s14, s3
	v_lshlrev_b64 v[4:5], 3, v[4:5]
	s_lshl_b64 s[8:9], s[8:9], 3
	v_lshlrev_b64 v[6:7], 3, v[6:7]
	s_add_u32 s2, s12, s8
	s_addc_u32 s8, s13, s9
	s_mul_i32 s6, s6, s10
	v_add_co_u32 v1, vcc_lo, s2, v4
	v_add_co_ci_u32_e32 v5, vcc_lo, s8, v5, vcc_lo
	s_delay_alu instid0(VALU_DEP_2) | instskip(NEXT) | instid1(VALU_DEP_2)
	v_add_co_u32 v4, vcc_lo, v1, v6
	v_add_co_ci_u32_e32 v5, vcc_lo, v5, v7, vcc_lo
	global_load_b64 v[4:5], v[4:5], off
	s_waitcnt vmcnt(0)
	v_cmp_lt_i64_e32 vcc_lo, -1, v[4:5]
	v_cmp_gt_i64_e64 s2, s[6:7], v[4:5]
	s_delay_alu instid0(VALU_DEP_1) | instskip(NEXT) | instid1(SALU_CYCLE_1)
	s_and_b32 s2, vcc_lo, s2
	s_and_saveexec_b32 s8, s2
	s_delay_alu instid0(SALU_CYCLE_1)
	s_xor_b32 s2, exec_lo, s8
	s_cbranch_execz .LBB11_6
; %bb.5:
	s_clause 0x1
	s_load_b256 s[8:15], s[0:1], 0x28
	s_load_b64 s[0:1], s[0:1], 0x0
	s_waitcnt lgkmcnt(0)
	v_mad_u64_u32 v[6:7], null, s12, v0, 0
	v_mul_lo_u32 v10, s15, v2
	v_mul_lo_u32 v11, s14, v3
	v_mad_u64_u32 v[8:9], null, s14, v2, 0
	s_mul_i32 s12, s8, s25
	s_mul_hi_u32 s17, s8, s24
	s_delay_alu instid0(VALU_DEP_4)
	v_mov_b32_e32 v1, v7
	s_mul_i32 s9, s9, s24
	s_add_i32 s12, s17, s12
	s_mul_i32 s8, s8, s24
	s_add_i32 s9, s12, s9
	v_mad_u64_u32 v[2:3], null, s13, v0, v[1:2]
	s_lshl_b64 s[8:9], s[8:9], 2
	s_mul_i32 s13, s10, s16
	s_mul_hi_u32 s12, s10, s3
	s_add_u32 s8, s0, s8
	s_mul_i32 s11, s11, s3
	s_addc_u32 s9, s1, s9
	s_delay_alu instid0(VALU_DEP_1)
	v_mov_b32_e32 v7, v2
	s_add_i32 s1, s12, s13
	v_add3_u32 v9, v9, v11, v10
	s_mul_i32 s0, s10, s3
	s_add_i32 s1, s1, s11
	v_lshlrev_b64 v[0:1], 2, v[6:7]
	s_lshl_b64 s[0:1], s[0:1], 2
	v_lshlrev_b64 v[2:3], 2, v[8:9]
	s_add_u32 s0, s8, s0
	s_addc_u32 s1, s9, s1
	s_delay_alu instid0(VALU_DEP_2) | instskip(SKIP_2) | instid1(VALU_DEP_2)
	v_add_co_u32 v0, vcc_lo, s0, v0
	v_add_co_ci_u32_e32 v1, vcc_lo, s1, v1, vcc_lo
	s_mul_i32 s0, s6, s25
	v_add_co_u32 v0, vcc_lo, v0, v2
	s_delay_alu instid0(VALU_DEP_2) | instskip(SKIP_1) | instid1(SALU_CYCLE_1)
	v_add_co_ci_u32_e32 v1, vcc_lo, v1, v3, vcc_lo
	s_mul_hi_u32 s1, s6, s24
	s_add_i32 s0, s1, s0
	global_load_b32 v2, v[0:1], off
	s_mul_i32 s1, s7, s24
	v_lshlrev_b64 v[0:1], 2, v[4:5]
	s_add_i32 s1, s0, s1
	s_mul_i32 s0, s6, s24
	s_delay_alu instid0(SALU_CYCLE_1) | instskip(NEXT) | instid1(SALU_CYCLE_1)
	s_lshl_b64 s[0:1], s[0:1], 2
	s_add_u32 s0, s4, s0
	s_addc_u32 s1, s5, s1
	v_add_co_u32 v0, vcc_lo, s0, v0
	v_add_co_ci_u32_e32 v1, vcc_lo, s1, v1, vcc_lo
	s_waitcnt vmcnt(0)
	global_store_b32 v[0:1], v2, off
.LBB11_6:
	s_and_not1_saveexec_b32 s0, s2
	s_cbranch_execnz .LBB11_9
.LBB11_7:
	s_nop 0
	s_sendmsg sendmsg(MSG_DEALLOC_VGPRS)
	s_endpgm
.LBB11_8:
                                        ; implicit-def: $sgpr24_sgpr25
	s_load_b32 s3, s[0:1], 0xc4
	s_branch .LBB11_2
.LBB11_9:
	s_cbranch_execnz .LBB11_11
; %bb.10:
	; divergent unreachable
	s_nop 0
	s_sendmsg sendmsg(MSG_DEALLOC_VGPRS)
	s_endpgm
.LBB11_11:
	s_trap 2
	s_sendmsg_rtn_b32 s0, sendmsg(MSG_RTN_GET_DOORBELL)
	s_mov_b32 ttmp2, m0
	s_waitcnt lgkmcnt(0)
	s_and_b32 s0, s0, 0x3ff
	s_delay_alu instid0(SALU_CYCLE_1) | instskip(NEXT) | instid1(SALU_CYCLE_1)
	s_bitset1_b32 s0, 10
	s_mov_b32 m0, s0
	s_sendmsg sendmsg(MSG_INTERRUPT)
	s_mov_b32 m0, ttmp2
.LBB11_12:                              ; =>This Inner Loop Header: Depth=1
	s_sethalt 5
	s_branch .LBB11_12
	.section	.rodata,"a",@progbits
	.p2align	6, 0x0
	.amdhsa_kernel _ZN2at6native30max_unpooling3d_forward_kernelIiEEvN5torch10headeronly6detail27GenericPackedTensorAccessorINS4_14TensorAccessorIN3c108ArrayRefIlEEKT_Lm3ENS3_16DefaultPtrTraitsElEENS_6detail16IndexBoundsCheckILm4ElEESB_Lm4ESC_lEENS5_INS6_IS9_KlLm3ESC_lEESG_SI_Lm4ESC_lEEPSA_llll
		.amdhsa_group_segment_fixed_size 0
		.amdhsa_private_segment_fixed_size 0
		.amdhsa_kernarg_size 440
		.amdhsa_user_sgpr_count 13
		.amdhsa_user_sgpr_dispatch_ptr 0
		.amdhsa_user_sgpr_queue_ptr 0
		.amdhsa_user_sgpr_kernarg_segment_ptr 1
		.amdhsa_user_sgpr_dispatch_id 0
		.amdhsa_user_sgpr_private_segment_size 0
		.amdhsa_wavefront_size32 1
		.amdhsa_uses_dynamic_stack 0
		.amdhsa_enable_private_segment 0
		.amdhsa_system_sgpr_workgroup_id_x 1
		.amdhsa_system_sgpr_workgroup_id_y 1
		.amdhsa_system_sgpr_workgroup_id_z 1
		.amdhsa_system_sgpr_workgroup_info 0
		.amdhsa_system_vgpr_workitem_id 1
		.amdhsa_next_free_vgpr 12
		.amdhsa_next_free_sgpr 29
		.amdhsa_reserve_vcc 1
		.amdhsa_float_round_mode_32 0
		.amdhsa_float_round_mode_16_64 0
		.amdhsa_float_denorm_mode_32 3
		.amdhsa_float_denorm_mode_16_64 3
		.amdhsa_dx10_clamp 1
		.amdhsa_ieee_mode 1
		.amdhsa_fp16_overflow 0
		.amdhsa_workgroup_processor_mode 1
		.amdhsa_memory_ordered 1
		.amdhsa_forward_progress 0
		.amdhsa_shared_vgpr_count 0
		.amdhsa_exception_fp_ieee_invalid_op 0
		.amdhsa_exception_fp_denorm_src 0
		.amdhsa_exception_fp_ieee_div_zero 0
		.amdhsa_exception_fp_ieee_overflow 0
		.amdhsa_exception_fp_ieee_underflow 0
		.amdhsa_exception_fp_ieee_inexact 0
		.amdhsa_exception_int_div_zero 0
	.end_amdhsa_kernel
	.section	.text._ZN2at6native30max_unpooling3d_forward_kernelIiEEvN5torch10headeronly6detail27GenericPackedTensorAccessorINS4_14TensorAccessorIN3c108ArrayRefIlEEKT_Lm3ENS3_16DefaultPtrTraitsElEENS_6detail16IndexBoundsCheckILm4ElEESB_Lm4ESC_lEENS5_INS6_IS9_KlLm3ESC_lEESG_SI_Lm4ESC_lEEPSA_llll,"axG",@progbits,_ZN2at6native30max_unpooling3d_forward_kernelIiEEvN5torch10headeronly6detail27GenericPackedTensorAccessorINS4_14TensorAccessorIN3c108ArrayRefIlEEKT_Lm3ENS3_16DefaultPtrTraitsElEENS_6detail16IndexBoundsCheckILm4ElEESB_Lm4ESC_lEENS5_INS6_IS9_KlLm3ESC_lEESG_SI_Lm4ESC_lEEPSA_llll,comdat
.Lfunc_end11:
	.size	_ZN2at6native30max_unpooling3d_forward_kernelIiEEvN5torch10headeronly6detail27GenericPackedTensorAccessorINS4_14TensorAccessorIN3c108ArrayRefIlEEKT_Lm3ENS3_16DefaultPtrTraitsElEENS_6detail16IndexBoundsCheckILm4ElEESB_Lm4ESC_lEENS5_INS6_IS9_KlLm3ESC_lEESG_SI_Lm4ESC_lEEPSA_llll, .Lfunc_end11-_ZN2at6native30max_unpooling3d_forward_kernelIiEEvN5torch10headeronly6detail27GenericPackedTensorAccessorINS4_14TensorAccessorIN3c108ArrayRefIlEEKT_Lm3ENS3_16DefaultPtrTraitsElEENS_6detail16IndexBoundsCheckILm4ElEESB_Lm4ESC_lEENS5_INS6_IS9_KlLm3ESC_lEESG_SI_Lm4ESC_lEEPSA_llll
                                        ; -- End function
	.section	.AMDGPU.csdata,"",@progbits
; Kernel info:
; codeLenInByte = 1612
; NumSgprs: 31
; NumVgprs: 12
; ScratchSize: 0
; MemoryBound: 0
; FloatMode: 240
; IeeeMode: 1
; LDSByteSize: 0 bytes/workgroup (compile time only)
; SGPRBlocks: 3
; VGPRBlocks: 1
; NumSGPRsForWavesPerEU: 31
; NumVGPRsForWavesPerEU: 12
; Occupancy: 16
; WaveLimiterHint : 1
; COMPUTE_PGM_RSRC2:SCRATCH_EN: 0
; COMPUTE_PGM_RSRC2:USER_SGPR: 13
; COMPUTE_PGM_RSRC2:TRAP_HANDLER: 0
; COMPUTE_PGM_RSRC2:TGID_X_EN: 1
; COMPUTE_PGM_RSRC2:TGID_Y_EN: 1
; COMPUTE_PGM_RSRC2:TGID_Z_EN: 1
; COMPUTE_PGM_RSRC2:TIDIG_COMP_CNT: 1
	.section	.text._ZN2at6native30max_unpooling3d_forward_kernelIlEEvN5torch10headeronly6detail27GenericPackedTensorAccessorINS4_14TensorAccessorIN3c108ArrayRefIlEEKT_Lm3ENS3_16DefaultPtrTraitsElEENS_6detail16IndexBoundsCheckILm4ElEESB_Lm4ESC_lEENS5_INS6_IS9_KlLm3ESC_lEESG_SI_Lm4ESC_lEEPSA_llll,"axG",@progbits,_ZN2at6native30max_unpooling3d_forward_kernelIlEEvN5torch10headeronly6detail27GenericPackedTensorAccessorINS4_14TensorAccessorIN3c108ArrayRefIlEEKT_Lm3ENS3_16DefaultPtrTraitsElEENS_6detail16IndexBoundsCheckILm4ElEESB_Lm4ESC_lEENS5_INS6_IS9_KlLm3ESC_lEESG_SI_Lm4ESC_lEEPSA_llll,comdat
	.protected	_ZN2at6native30max_unpooling3d_forward_kernelIlEEvN5torch10headeronly6detail27GenericPackedTensorAccessorINS4_14TensorAccessorIN3c108ArrayRefIlEEKT_Lm3ENS3_16DefaultPtrTraitsElEENS_6detail16IndexBoundsCheckILm4ElEESB_Lm4ESC_lEENS5_INS6_IS9_KlLm3ESC_lEESG_SI_Lm4ESC_lEEPSA_llll ; -- Begin function _ZN2at6native30max_unpooling3d_forward_kernelIlEEvN5torch10headeronly6detail27GenericPackedTensorAccessorINS4_14TensorAccessorIN3c108ArrayRefIlEEKT_Lm3ENS3_16DefaultPtrTraitsElEENS_6detail16IndexBoundsCheckILm4ElEESB_Lm4ESC_lEENS5_INS6_IS9_KlLm3ESC_lEESG_SI_Lm4ESC_lEEPSA_llll
	.globl	_ZN2at6native30max_unpooling3d_forward_kernelIlEEvN5torch10headeronly6detail27GenericPackedTensorAccessorINS4_14TensorAccessorIN3c108ArrayRefIlEEKT_Lm3ENS3_16DefaultPtrTraitsElEENS_6detail16IndexBoundsCheckILm4ElEESB_Lm4ESC_lEENS5_INS6_IS9_KlLm3ESC_lEESG_SI_Lm4ESC_lEEPSA_llll
	.p2align	8
	.type	_ZN2at6native30max_unpooling3d_forward_kernelIlEEvN5torch10headeronly6detail27GenericPackedTensorAccessorINS4_14TensorAccessorIN3c108ArrayRefIlEEKT_Lm3ENS3_16DefaultPtrTraitsElEENS_6detail16IndexBoundsCheckILm4ElEESB_Lm4ESC_lEENS5_INS6_IS9_KlLm3ESC_lEESG_SI_Lm4ESC_lEEPSA_llll,@function
_ZN2at6native30max_unpooling3d_forward_kernelIlEEvN5torch10headeronly6detail27GenericPackedTensorAccessorINS4_14TensorAccessorIN3c108ArrayRefIlEEKT_Lm3ENS3_16DefaultPtrTraitsElEENS_6detail16IndexBoundsCheckILm4ElEESB_Lm4ESC_lEENS5_INS6_IS9_KlLm3ESC_lEESG_SI_Lm4ESC_lEEPSA_llll: ; @_ZN2at6native30max_unpooling3d_forward_kernelIlEEvN5torch10headeronly6detail27GenericPackedTensorAccessorINS4_14TensorAccessorIN3c108ArrayRefIlEEKT_Lm3ENS3_16DefaultPtrTraitsElEENS_6detail16IndexBoundsCheckILm4ElEESB_Lm4ESC_lEENS5_INS6_IS9_KlLm3ESC_lEESG_SI_Lm4ESC_lEEPSA_llll
; %bb.0:
	s_clause 0x1
	s_load_b64 s[2:3], s[0:1], 0xb0
	s_load_b64 s[22:23], s[0:1], 0x10
	s_waitcnt lgkmcnt(0)
	s_add_u32 s20, s15, s2
	s_addc_u32 s21, 0, s3
	s_delay_alu instid0(SALU_CYCLE_1) | instskip(SKIP_1) | instid1(SALU_CYCLE_1)
	s_or_b64 s[2:3], s[20:21], s[22:23]
	s_mov_b32 s2, 0
	s_cmp_lg_u64 s[2:3], 0
	s_cbranch_scc0 .LBB12_8
; %bb.1:
	s_ashr_i32 s4, s23, 31
	s_delay_alu instid0(SALU_CYCLE_1) | instskip(SKIP_2) | instid1(SALU_CYCLE_1)
	s_add_u32 s6, s22, s4
	s_mov_b32 s5, s4
	s_addc_u32 s7, s23, s4
	s_xor_b64 s[6:7], s[6:7], s[4:5]
	s_delay_alu instid0(SALU_CYCLE_1) | instskip(SKIP_3) | instid1(VALU_DEP_1)
	v_cvt_f32_u32_e32 v1, s6
	v_cvt_f32_u32_e32 v2, s7
	s_sub_u32 s9, 0, s6
	s_subb_u32 s10, 0, s7
	v_fmamk_f32 v1, v2, 0x4f800000, v1
	s_delay_alu instid0(VALU_DEP_1) | instskip(SKIP_2) | instid1(VALU_DEP_1)
	v_rcp_f32_e32 v1, v1
	s_waitcnt_depctr 0xfff
	v_mul_f32_e32 v1, 0x5f7ffffc, v1
	v_mul_f32_e32 v2, 0x2f800000, v1
	s_delay_alu instid0(VALU_DEP_1) | instskip(NEXT) | instid1(VALU_DEP_1)
	v_trunc_f32_e32 v2, v2
	v_fmamk_f32 v1, v2, 0xcf800000, v1
	v_cvt_u32_f32_e32 v2, v2
	s_delay_alu instid0(VALU_DEP_2) | instskip(NEXT) | instid1(VALU_DEP_2)
	v_cvt_u32_f32_e32 v1, v1
	v_readfirstlane_b32 s3, v2
	s_delay_alu instid0(VALU_DEP_2) | instskip(NEXT) | instid1(VALU_DEP_2)
	v_readfirstlane_b32 s8, v1
	s_mul_i32 s11, s9, s3
	s_delay_alu instid0(VALU_DEP_1)
	s_mul_hi_u32 s15, s9, s8
	s_mul_i32 s12, s10, s8
	s_add_i32 s11, s15, s11
	s_mul_i32 s16, s9, s8
	s_add_i32 s11, s11, s12
	s_mul_hi_u32 s15, s8, s16
	s_mul_hi_u32 s17, s3, s16
	s_mul_i32 s12, s3, s16
	s_mul_hi_u32 s16, s8, s11
	s_mul_i32 s8, s8, s11
	s_mul_hi_u32 s18, s3, s11
	s_add_u32 s8, s15, s8
	s_addc_u32 s15, 0, s16
	s_add_u32 s8, s8, s12
	s_mul_i32 s11, s3, s11
	s_addc_u32 s8, s15, s17
	s_addc_u32 s12, s18, 0
	s_add_u32 s8, s8, s11
	s_addc_u32 s11, 0, s12
	v_add_co_u32 v1, s8, v1, s8
	s_delay_alu instid0(VALU_DEP_1) | instskip(SKIP_1) | instid1(VALU_DEP_1)
	s_cmp_lg_u32 s8, 0
	s_addc_u32 s3, s3, s11
	v_readfirstlane_b32 s8, v1
	s_mul_i32 s11, s9, s3
	s_delay_alu instid0(VALU_DEP_1)
	s_mul_hi_u32 s12, s9, s8
	s_mul_i32 s10, s10, s8
	s_add_i32 s11, s12, s11
	s_mul_i32 s9, s9, s8
	s_add_i32 s11, s11, s10
	s_mul_hi_u32 s12, s3, s9
	s_mul_i32 s15, s3, s9
	s_mul_hi_u32 s9, s8, s9
	s_mul_hi_u32 s16, s8, s11
	s_mul_i32 s8, s8, s11
	s_mul_hi_u32 s10, s3, s11
	s_add_u32 s8, s9, s8
	s_addc_u32 s9, 0, s16
	s_add_u32 s8, s8, s15
	s_mul_i32 s11, s3, s11
	s_addc_u32 s8, s9, s12
	s_addc_u32 s9, s10, 0
	s_add_u32 s8, s8, s11
	s_addc_u32 s9, 0, s9
	v_add_co_u32 v1, s8, v1, s8
	s_delay_alu instid0(VALU_DEP_1) | instskip(SKIP_2) | instid1(VALU_DEP_1)
	s_cmp_lg_u32 s8, 0
	s_addc_u32 s3, s3, s9
	s_ashr_i32 s8, s21, 31
	v_readfirstlane_b32 s12, v1
	s_add_u32 s10, s20, s8
	s_mov_b32 s9, s8
	s_addc_u32 s11, s21, s8
	s_delay_alu instid0(SALU_CYCLE_1) | instskip(NEXT) | instid1(SALU_CYCLE_1)
	s_xor_b64 s[10:11], s[10:11], s[8:9]
	s_mul_i32 s16, s10, s3
	s_mul_hi_u32 s17, s10, s12
	s_mul_hi_u32 s15, s10, s3
	s_mul_hi_u32 s19, s11, s12
	s_mul_i32 s12, s11, s12
	s_add_u32 s16, s17, s16
	s_addc_u32 s15, 0, s15
	s_mul_hi_u32 s18, s11, s3
	s_add_u32 s12, s16, s12
	s_mul_i32 s3, s11, s3
	s_addc_u32 s12, s15, s19
	s_addc_u32 s15, s18, 0
	s_add_u32 s3, s12, s3
	s_addc_u32 s12, 0, s15
	s_mul_i32 s18, s6, s3
	s_mul_hi_u32 s15, s6, s3
	s_mul_i32 s17, s6, s12
	v_sub_co_u32 v1, s10, s10, s18
	s_mul_i32 s16, s7, s3
	s_add_i32 s15, s15, s17
	s_delay_alu instid0(SALU_CYCLE_1) | instskip(NEXT) | instid1(VALU_DEP_1)
	s_add_i32 s15, s15, s16
	v_sub_co_u32 v2, s17, v1, s6
	s_sub_i32 s16, s11, s15
	s_cmp_lg_u32 s10, 0
	s_subb_u32 s16, s16, s7
	s_cmp_lg_u32 s17, 0
	v_readfirstlane_b32 s17, v2
	s_subb_u32 s16, s16, 0
	s_delay_alu instid0(SALU_CYCLE_1) | instskip(SKIP_1) | instid1(VALU_DEP_1)
	s_cmp_ge_u32 s16, s7
	s_cselect_b32 s18, -1, 0
	s_cmp_ge_u32 s17, s6
	s_cselect_b32 s17, -1, 0
	s_cmp_eq_u32 s16, s7
	s_cselect_b32 s16, s17, s18
	s_add_u32 s17, s3, 1
	s_addc_u32 s18, s12, 0
	s_add_u32 s19, s3, 2
	s_addc_u32 s24, s12, 0
	s_cmp_lg_u32 s16, 0
	s_cselect_b32 s16, s19, s17
	s_cselect_b32 s17, s24, s18
	s_cmp_lg_u32 s10, 0
	v_readfirstlane_b32 s10, v1
	s_subb_u32 s11, s11, s15
	s_delay_alu instid0(SALU_CYCLE_1) | instskip(SKIP_1) | instid1(VALU_DEP_1)
	s_cmp_ge_u32 s11, s7
	s_cselect_b32 s15, -1, 0
	s_cmp_ge_u32 s10, s6
	s_cselect_b32 s6, -1, 0
	s_cmp_eq_u32 s11, s7
	s_cselect_b32 s6, s6, s15
	s_delay_alu instid0(SALU_CYCLE_1) | instskip(SKIP_3) | instid1(SALU_CYCLE_1)
	s_cmp_lg_u32 s6, 0
	s_cselect_b32 s7, s17, s12
	s_cselect_b32 s6, s16, s3
	s_xor_b64 s[4:5], s[8:9], s[4:5]
	s_xor_b64 s[6:7], s[6:7], s[4:5]
	s_delay_alu instid0(SALU_CYCLE_1)
	s_sub_u32 s24, s6, s4
	s_subb_u32 s25, s7, s5
	s_load_b32 s3, s[0:1], 0xc4
	s_and_not1_b32 vcc_lo, exec_lo, s2
	s_cbranch_vccnz .LBB12_3
.LBB12_2:
	v_cvt_f32_u32_e32 v1, s22
	s_sub_i32 s4, 0, s22
	s_mov_b32 s25, 0
	s_delay_alu instid0(VALU_DEP_1) | instskip(SKIP_2) | instid1(VALU_DEP_1)
	v_rcp_iflag_f32_e32 v1, v1
	s_waitcnt_depctr 0xfff
	v_mul_f32_e32 v1, 0x4f7ffffe, v1
	v_cvt_u32_f32_e32 v1, v1
	s_delay_alu instid0(VALU_DEP_1) | instskip(NEXT) | instid1(VALU_DEP_1)
	v_readfirstlane_b32 s2, v1
	s_mul_i32 s4, s4, s2
	s_delay_alu instid0(SALU_CYCLE_1) | instskip(NEXT) | instid1(SALU_CYCLE_1)
	s_mul_hi_u32 s4, s2, s4
	s_add_i32 s2, s2, s4
	s_delay_alu instid0(SALU_CYCLE_1) | instskip(NEXT) | instid1(SALU_CYCLE_1)
	s_mul_hi_u32 s2, s20, s2
	s_mul_i32 s4, s2, s22
	s_add_i32 s5, s2, 1
	s_sub_i32 s4, s20, s4
	s_delay_alu instid0(SALU_CYCLE_1)
	s_sub_i32 s6, s4, s22
	s_cmp_ge_u32 s4, s22
	s_cselect_b32 s2, s5, s2
	s_cselect_b32 s4, s6, s4
	s_add_i32 s5, s2, 1
	s_cmp_ge_u32 s4, s22
	s_cselect_b32 s24, s5, s2
.LBB12_3:
	s_load_b128 s[4:7], s[0:1], 0x18
	v_bfe_u32 v2, v0, 10, 10
	v_dual_mov_b32 v5, 0 :: v_dual_and_b32 v4, 0x3ff, v0
	s_waitcnt lgkmcnt(0)
	s_lshr_b32 s2, s3, 16
	s_and_b32 s3, s3, 0xffff
	v_mad_u64_u32 v[0:1], null, s14, s2, v[2:3]
	v_mad_u64_u32 v[2:3], null, s3, s13, v[4:5]
	v_mov_b32_e32 v1, v5
	s_delay_alu instid0(VALU_DEP_1) | instskip(NEXT) | instid1(VALU_DEP_3)
	v_cmp_gt_i64_e32 vcc_lo, s[4:5], v[0:1]
	v_cmp_gt_i64_e64 s2, s[6:7], v[2:3]
	s_delay_alu instid0(VALU_DEP_1) | instskip(NEXT) | instid1(SALU_CYCLE_1)
	s_and_b32 s2, vcc_lo, s2
	s_and_saveexec_b32 s3, s2
	s_cbranch_execz .LBB12_7
; %bb.4:
	s_clause 0x1
	s_load_b256 s[4:11], s[0:1], 0x90
	s_load_b256 s[12:19], s[0:1], 0x70
	s_mul_i32 s2, s24, s23
	s_mul_hi_u32 s3, s24, s22
	s_mul_i32 s26, s25, s22
	s_mul_i32 s27, s24, s22
	s_load_b64 s[22:23], s[0:1], 0x48
	s_add_i32 s2, s3, s2
	s_delay_alu instid0(SALU_CYCLE_1)
	s_add_i32 s2, s2, s26
	s_waitcnt lgkmcnt(0)
	s_mul_i32 s3, s8, s7
	v_mad_u64_u32 v[4:5], null, s16, v0, 0
	s_mul_hi_u32 s7, s8, s6
	s_mul_i32 s9, s9, s6
	s_mul_i32 s6, s8, s6
	s_add_i32 s3, s7, s3
	s_mul_i32 s7, s6, s11
	s_mul_hi_u32 s8, s6, s10
	s_add_i32 s3, s3, s9
	v_mov_b32_e32 v1, v5
	s_add_i32 s7, s8, s7
	s_mul_i32 s3, s3, s10
	s_mul_i32 s26, s12, s25
	s_mul_hi_u32 s28, s12, s24
	s_add_i32 s7, s7, s3
	s_sub_u32 s3, s20, s27
	s_mul_i32 s13, s13, s24
	s_subb_u32 s16, s21, s2
	s_add_i32 s2, s28, s26
	v_mad_u64_u32 v[5:6], null, s17, v0, v[1:2]
	v_mul_lo_u32 v1, s19, v2
	v_mul_lo_u32 v8, s18, v3
	v_mad_u64_u32 v[6:7], null, s18, v2, 0
	s_mul_i32 s8, s12, s24
	s_add_i32 s9, s2, s13
	s_mul_hi_u32 s2, s14, s3
	s_lshl_b64 s[8:9], s[8:9], 3
	s_mul_i32 s11, s14, s16
	s_add_u32 s12, s22, s8
	s_addc_u32 s13, s23, s9
	s_add_i32 s2, s2, s11
	s_mul_i32 s8, s15, s3
	v_add3_u32 v7, v7, v8, v1
	s_add_i32 s9, s2, s8
	s_mul_i32 s8, s14, s3
	v_lshlrev_b64 v[4:5], 3, v[4:5]
	s_lshl_b64 s[8:9], s[8:9], 3
	v_lshlrev_b64 v[6:7], 3, v[6:7]
	s_add_u32 s2, s12, s8
	s_addc_u32 s8, s13, s9
	s_mul_i32 s6, s6, s10
	v_add_co_u32 v1, vcc_lo, s2, v4
	v_add_co_ci_u32_e32 v5, vcc_lo, s8, v5, vcc_lo
	s_delay_alu instid0(VALU_DEP_2) | instskip(NEXT) | instid1(VALU_DEP_2)
	v_add_co_u32 v4, vcc_lo, v1, v6
	v_add_co_ci_u32_e32 v5, vcc_lo, v5, v7, vcc_lo
	global_load_b64 v[4:5], v[4:5], off
	s_waitcnt vmcnt(0)
	v_cmp_lt_i64_e32 vcc_lo, -1, v[4:5]
	v_cmp_gt_i64_e64 s2, s[6:7], v[4:5]
	s_delay_alu instid0(VALU_DEP_1) | instskip(NEXT) | instid1(SALU_CYCLE_1)
	s_and_b32 s2, vcc_lo, s2
	s_and_saveexec_b32 s8, s2
	s_delay_alu instid0(SALU_CYCLE_1)
	s_xor_b32 s2, exec_lo, s8
	s_cbranch_execz .LBB12_6
; %bb.5:
	s_clause 0x1
	s_load_b256 s[8:15], s[0:1], 0x28
	s_load_b64 s[0:1], s[0:1], 0x0
	s_waitcnt lgkmcnt(0)
	v_mad_u64_u32 v[6:7], null, s12, v0, 0
	v_mul_lo_u32 v10, s15, v2
	v_mul_lo_u32 v11, s14, v3
	v_mad_u64_u32 v[8:9], null, s14, v2, 0
	s_mul_i32 s12, s8, s25
	s_mul_hi_u32 s17, s8, s24
	s_delay_alu instid0(VALU_DEP_4)
	v_mov_b32_e32 v1, v7
	s_mul_i32 s9, s9, s24
	s_add_i32 s12, s17, s12
	s_mul_i32 s8, s8, s24
	s_add_i32 s9, s12, s9
	v_mad_u64_u32 v[2:3], null, s13, v0, v[1:2]
	s_lshl_b64 s[8:9], s[8:9], 3
	s_mul_i32 s13, s10, s16
	s_mul_hi_u32 s12, s10, s3
	s_add_u32 s8, s0, s8
	s_mul_i32 s11, s11, s3
	s_addc_u32 s9, s1, s9
	s_delay_alu instid0(VALU_DEP_1)
	v_mov_b32_e32 v7, v2
	s_add_i32 s1, s12, s13
	v_add3_u32 v9, v9, v11, v10
	s_mul_i32 s0, s10, s3
	s_add_i32 s1, s1, s11
	v_lshlrev_b64 v[0:1], 3, v[6:7]
	s_lshl_b64 s[0:1], s[0:1], 3
	v_lshlrev_b64 v[2:3], 3, v[8:9]
	s_add_u32 s0, s8, s0
	s_addc_u32 s1, s9, s1
	s_delay_alu instid0(VALU_DEP_2) | instskip(SKIP_2) | instid1(VALU_DEP_2)
	v_add_co_u32 v0, vcc_lo, s0, v0
	v_add_co_ci_u32_e32 v1, vcc_lo, s1, v1, vcc_lo
	s_mul_i32 s0, s6, s25
	v_add_co_u32 v0, vcc_lo, v0, v2
	s_delay_alu instid0(VALU_DEP_2)
	v_add_co_ci_u32_e32 v1, vcc_lo, v1, v3, vcc_lo
	s_mul_hi_u32 s1, s6, s24
	v_lshlrev_b64 v[2:3], 3, v[4:5]
	s_add_i32 s0, s1, s0
	global_load_b64 v[0:1], v[0:1], off
	s_mul_i32 s1, s7, s24
	s_delay_alu instid0(SALU_CYCLE_1) | instskip(SKIP_1) | instid1(SALU_CYCLE_1)
	s_add_i32 s1, s0, s1
	s_mul_i32 s0, s6, s24
	s_lshl_b64 s[0:1], s[0:1], 3
	s_delay_alu instid0(SALU_CYCLE_1)
	s_add_u32 s0, s4, s0
	s_addc_u32 s1, s5, s1
	v_add_co_u32 v2, vcc_lo, s0, v2
	v_add_co_ci_u32_e32 v3, vcc_lo, s1, v3, vcc_lo
	s_waitcnt vmcnt(0)
	global_store_b64 v[2:3], v[0:1], off
.LBB12_6:
	s_and_not1_saveexec_b32 s0, s2
	s_cbranch_execnz .LBB12_9
.LBB12_7:
	s_nop 0
	s_sendmsg sendmsg(MSG_DEALLOC_VGPRS)
	s_endpgm
.LBB12_8:
                                        ; implicit-def: $sgpr24_sgpr25
	s_load_b32 s3, s[0:1], 0xc4
	s_branch .LBB12_2
.LBB12_9:
	s_cbranch_execnz .LBB12_11
; %bb.10:
	; divergent unreachable
	s_nop 0
	s_sendmsg sendmsg(MSG_DEALLOC_VGPRS)
	s_endpgm
.LBB12_11:
	s_trap 2
	s_sendmsg_rtn_b32 s0, sendmsg(MSG_RTN_GET_DOORBELL)
	s_mov_b32 ttmp2, m0
	s_waitcnt lgkmcnt(0)
	s_and_b32 s0, s0, 0x3ff
	s_delay_alu instid0(SALU_CYCLE_1) | instskip(NEXT) | instid1(SALU_CYCLE_1)
	s_bitset1_b32 s0, 10
	s_mov_b32 m0, s0
	s_sendmsg sendmsg(MSG_INTERRUPT)
	s_mov_b32 m0, ttmp2
.LBB12_12:                              ; =>This Inner Loop Header: Depth=1
	s_sethalt 5
	s_branch .LBB12_12
	.section	.rodata,"a",@progbits
	.p2align	6, 0x0
	.amdhsa_kernel _ZN2at6native30max_unpooling3d_forward_kernelIlEEvN5torch10headeronly6detail27GenericPackedTensorAccessorINS4_14TensorAccessorIN3c108ArrayRefIlEEKT_Lm3ENS3_16DefaultPtrTraitsElEENS_6detail16IndexBoundsCheckILm4ElEESB_Lm4ESC_lEENS5_INS6_IS9_KlLm3ESC_lEESG_SI_Lm4ESC_lEEPSA_llll
		.amdhsa_group_segment_fixed_size 0
		.amdhsa_private_segment_fixed_size 0
		.amdhsa_kernarg_size 440
		.amdhsa_user_sgpr_count 13
		.amdhsa_user_sgpr_dispatch_ptr 0
		.amdhsa_user_sgpr_queue_ptr 0
		.amdhsa_user_sgpr_kernarg_segment_ptr 1
		.amdhsa_user_sgpr_dispatch_id 0
		.amdhsa_user_sgpr_private_segment_size 0
		.amdhsa_wavefront_size32 1
		.amdhsa_uses_dynamic_stack 0
		.amdhsa_enable_private_segment 0
		.amdhsa_system_sgpr_workgroup_id_x 1
		.amdhsa_system_sgpr_workgroup_id_y 1
		.amdhsa_system_sgpr_workgroup_id_z 1
		.amdhsa_system_sgpr_workgroup_info 0
		.amdhsa_system_vgpr_workitem_id 1
		.amdhsa_next_free_vgpr 12
		.amdhsa_next_free_sgpr 29
		.amdhsa_reserve_vcc 1
		.amdhsa_float_round_mode_32 0
		.amdhsa_float_round_mode_16_64 0
		.amdhsa_float_denorm_mode_32 3
		.amdhsa_float_denorm_mode_16_64 3
		.amdhsa_dx10_clamp 1
		.amdhsa_ieee_mode 1
		.amdhsa_fp16_overflow 0
		.amdhsa_workgroup_processor_mode 1
		.amdhsa_memory_ordered 1
		.amdhsa_forward_progress 0
		.amdhsa_shared_vgpr_count 0
		.amdhsa_exception_fp_ieee_invalid_op 0
		.amdhsa_exception_fp_denorm_src 0
		.amdhsa_exception_fp_ieee_div_zero 0
		.amdhsa_exception_fp_ieee_overflow 0
		.amdhsa_exception_fp_ieee_underflow 0
		.amdhsa_exception_fp_ieee_inexact 0
		.amdhsa_exception_int_div_zero 0
	.end_amdhsa_kernel
	.section	.text._ZN2at6native30max_unpooling3d_forward_kernelIlEEvN5torch10headeronly6detail27GenericPackedTensorAccessorINS4_14TensorAccessorIN3c108ArrayRefIlEEKT_Lm3ENS3_16DefaultPtrTraitsElEENS_6detail16IndexBoundsCheckILm4ElEESB_Lm4ESC_lEENS5_INS6_IS9_KlLm3ESC_lEESG_SI_Lm4ESC_lEEPSA_llll,"axG",@progbits,_ZN2at6native30max_unpooling3d_forward_kernelIlEEvN5torch10headeronly6detail27GenericPackedTensorAccessorINS4_14TensorAccessorIN3c108ArrayRefIlEEKT_Lm3ENS3_16DefaultPtrTraitsElEENS_6detail16IndexBoundsCheckILm4ElEESB_Lm4ESC_lEENS5_INS6_IS9_KlLm3ESC_lEESG_SI_Lm4ESC_lEEPSA_llll,comdat
.Lfunc_end12:
	.size	_ZN2at6native30max_unpooling3d_forward_kernelIlEEvN5torch10headeronly6detail27GenericPackedTensorAccessorINS4_14TensorAccessorIN3c108ArrayRefIlEEKT_Lm3ENS3_16DefaultPtrTraitsElEENS_6detail16IndexBoundsCheckILm4ElEESB_Lm4ESC_lEENS5_INS6_IS9_KlLm3ESC_lEESG_SI_Lm4ESC_lEEPSA_llll, .Lfunc_end12-_ZN2at6native30max_unpooling3d_forward_kernelIlEEvN5torch10headeronly6detail27GenericPackedTensorAccessorINS4_14TensorAccessorIN3c108ArrayRefIlEEKT_Lm3ENS3_16DefaultPtrTraitsElEENS_6detail16IndexBoundsCheckILm4ElEESB_Lm4ESC_lEENS5_INS6_IS9_KlLm3ESC_lEESG_SI_Lm4ESC_lEEPSA_llll
                                        ; -- End function
	.section	.AMDGPU.csdata,"",@progbits
; Kernel info:
; codeLenInByte = 1616
; NumSgprs: 31
; NumVgprs: 12
; ScratchSize: 0
; MemoryBound: 0
; FloatMode: 240
; IeeeMode: 1
; LDSByteSize: 0 bytes/workgroup (compile time only)
; SGPRBlocks: 3
; VGPRBlocks: 1
; NumSGPRsForWavesPerEU: 31
; NumVGPRsForWavesPerEU: 12
; Occupancy: 16
; WaveLimiterHint : 1
; COMPUTE_PGM_RSRC2:SCRATCH_EN: 0
; COMPUTE_PGM_RSRC2:USER_SGPR: 13
; COMPUTE_PGM_RSRC2:TRAP_HANDLER: 0
; COMPUTE_PGM_RSRC2:TGID_X_EN: 1
; COMPUTE_PGM_RSRC2:TGID_Y_EN: 1
; COMPUTE_PGM_RSRC2:TGID_Z_EN: 1
; COMPUTE_PGM_RSRC2:TIDIG_COMP_CNT: 1
	.section	.text._ZN2at6native30max_unpooling3d_forward_kernelIsEEvN5torch10headeronly6detail27GenericPackedTensorAccessorINS4_14TensorAccessorIN3c108ArrayRefIlEEKT_Lm3ENS3_16DefaultPtrTraitsElEENS_6detail16IndexBoundsCheckILm4ElEESB_Lm4ESC_lEENS5_INS6_IS9_KlLm3ESC_lEESG_SI_Lm4ESC_lEEPSA_llll,"axG",@progbits,_ZN2at6native30max_unpooling3d_forward_kernelIsEEvN5torch10headeronly6detail27GenericPackedTensorAccessorINS4_14TensorAccessorIN3c108ArrayRefIlEEKT_Lm3ENS3_16DefaultPtrTraitsElEENS_6detail16IndexBoundsCheckILm4ElEESB_Lm4ESC_lEENS5_INS6_IS9_KlLm3ESC_lEESG_SI_Lm4ESC_lEEPSA_llll,comdat
	.protected	_ZN2at6native30max_unpooling3d_forward_kernelIsEEvN5torch10headeronly6detail27GenericPackedTensorAccessorINS4_14TensorAccessorIN3c108ArrayRefIlEEKT_Lm3ENS3_16DefaultPtrTraitsElEENS_6detail16IndexBoundsCheckILm4ElEESB_Lm4ESC_lEENS5_INS6_IS9_KlLm3ESC_lEESG_SI_Lm4ESC_lEEPSA_llll ; -- Begin function _ZN2at6native30max_unpooling3d_forward_kernelIsEEvN5torch10headeronly6detail27GenericPackedTensorAccessorINS4_14TensorAccessorIN3c108ArrayRefIlEEKT_Lm3ENS3_16DefaultPtrTraitsElEENS_6detail16IndexBoundsCheckILm4ElEESB_Lm4ESC_lEENS5_INS6_IS9_KlLm3ESC_lEESG_SI_Lm4ESC_lEEPSA_llll
	.globl	_ZN2at6native30max_unpooling3d_forward_kernelIsEEvN5torch10headeronly6detail27GenericPackedTensorAccessorINS4_14TensorAccessorIN3c108ArrayRefIlEEKT_Lm3ENS3_16DefaultPtrTraitsElEENS_6detail16IndexBoundsCheckILm4ElEESB_Lm4ESC_lEENS5_INS6_IS9_KlLm3ESC_lEESG_SI_Lm4ESC_lEEPSA_llll
	.p2align	8
	.type	_ZN2at6native30max_unpooling3d_forward_kernelIsEEvN5torch10headeronly6detail27GenericPackedTensorAccessorINS4_14TensorAccessorIN3c108ArrayRefIlEEKT_Lm3ENS3_16DefaultPtrTraitsElEENS_6detail16IndexBoundsCheckILm4ElEESB_Lm4ESC_lEENS5_INS6_IS9_KlLm3ESC_lEESG_SI_Lm4ESC_lEEPSA_llll,@function
_ZN2at6native30max_unpooling3d_forward_kernelIsEEvN5torch10headeronly6detail27GenericPackedTensorAccessorINS4_14TensorAccessorIN3c108ArrayRefIlEEKT_Lm3ENS3_16DefaultPtrTraitsElEENS_6detail16IndexBoundsCheckILm4ElEESB_Lm4ESC_lEENS5_INS6_IS9_KlLm3ESC_lEESG_SI_Lm4ESC_lEEPSA_llll: ; @_ZN2at6native30max_unpooling3d_forward_kernelIsEEvN5torch10headeronly6detail27GenericPackedTensorAccessorINS4_14TensorAccessorIN3c108ArrayRefIlEEKT_Lm3ENS3_16DefaultPtrTraitsElEENS_6detail16IndexBoundsCheckILm4ElEESB_Lm4ESC_lEENS5_INS6_IS9_KlLm3ESC_lEESG_SI_Lm4ESC_lEEPSA_llll
; %bb.0:
	s_clause 0x1
	s_load_b64 s[2:3], s[0:1], 0xb0
	s_load_b64 s[22:23], s[0:1], 0x10
	s_waitcnt lgkmcnt(0)
	s_add_u32 s20, s15, s2
	s_addc_u32 s21, 0, s3
	s_delay_alu instid0(SALU_CYCLE_1) | instskip(SKIP_1) | instid1(SALU_CYCLE_1)
	s_or_b64 s[2:3], s[20:21], s[22:23]
	s_mov_b32 s2, 0
	s_cmp_lg_u64 s[2:3], 0
	s_cbranch_scc0 .LBB13_8
; %bb.1:
	s_ashr_i32 s4, s23, 31
	s_delay_alu instid0(SALU_CYCLE_1) | instskip(SKIP_2) | instid1(SALU_CYCLE_1)
	s_add_u32 s6, s22, s4
	s_mov_b32 s5, s4
	s_addc_u32 s7, s23, s4
	s_xor_b64 s[6:7], s[6:7], s[4:5]
	s_delay_alu instid0(SALU_CYCLE_1) | instskip(SKIP_3) | instid1(VALU_DEP_1)
	v_cvt_f32_u32_e32 v1, s6
	v_cvt_f32_u32_e32 v2, s7
	s_sub_u32 s9, 0, s6
	s_subb_u32 s10, 0, s7
	v_fmamk_f32 v1, v2, 0x4f800000, v1
	s_delay_alu instid0(VALU_DEP_1) | instskip(SKIP_2) | instid1(VALU_DEP_1)
	v_rcp_f32_e32 v1, v1
	s_waitcnt_depctr 0xfff
	v_mul_f32_e32 v1, 0x5f7ffffc, v1
	v_mul_f32_e32 v2, 0x2f800000, v1
	s_delay_alu instid0(VALU_DEP_1) | instskip(NEXT) | instid1(VALU_DEP_1)
	v_trunc_f32_e32 v2, v2
	v_fmamk_f32 v1, v2, 0xcf800000, v1
	v_cvt_u32_f32_e32 v2, v2
	s_delay_alu instid0(VALU_DEP_2) | instskip(NEXT) | instid1(VALU_DEP_2)
	v_cvt_u32_f32_e32 v1, v1
	v_readfirstlane_b32 s3, v2
	s_delay_alu instid0(VALU_DEP_2) | instskip(NEXT) | instid1(VALU_DEP_2)
	v_readfirstlane_b32 s8, v1
	s_mul_i32 s11, s9, s3
	s_delay_alu instid0(VALU_DEP_1)
	s_mul_hi_u32 s15, s9, s8
	s_mul_i32 s12, s10, s8
	s_add_i32 s11, s15, s11
	s_mul_i32 s16, s9, s8
	s_add_i32 s11, s11, s12
	s_mul_hi_u32 s15, s8, s16
	s_mul_hi_u32 s17, s3, s16
	s_mul_i32 s12, s3, s16
	s_mul_hi_u32 s16, s8, s11
	s_mul_i32 s8, s8, s11
	s_mul_hi_u32 s18, s3, s11
	s_add_u32 s8, s15, s8
	s_addc_u32 s15, 0, s16
	s_add_u32 s8, s8, s12
	s_mul_i32 s11, s3, s11
	s_addc_u32 s8, s15, s17
	s_addc_u32 s12, s18, 0
	s_add_u32 s8, s8, s11
	s_addc_u32 s11, 0, s12
	v_add_co_u32 v1, s8, v1, s8
	s_delay_alu instid0(VALU_DEP_1) | instskip(SKIP_1) | instid1(VALU_DEP_1)
	s_cmp_lg_u32 s8, 0
	s_addc_u32 s3, s3, s11
	v_readfirstlane_b32 s8, v1
	s_mul_i32 s11, s9, s3
	s_delay_alu instid0(VALU_DEP_1)
	s_mul_hi_u32 s12, s9, s8
	s_mul_i32 s10, s10, s8
	s_add_i32 s11, s12, s11
	s_mul_i32 s9, s9, s8
	s_add_i32 s11, s11, s10
	s_mul_hi_u32 s12, s3, s9
	s_mul_i32 s15, s3, s9
	s_mul_hi_u32 s9, s8, s9
	s_mul_hi_u32 s16, s8, s11
	s_mul_i32 s8, s8, s11
	s_mul_hi_u32 s10, s3, s11
	s_add_u32 s8, s9, s8
	s_addc_u32 s9, 0, s16
	s_add_u32 s8, s8, s15
	s_mul_i32 s11, s3, s11
	s_addc_u32 s8, s9, s12
	s_addc_u32 s9, s10, 0
	s_add_u32 s8, s8, s11
	s_addc_u32 s9, 0, s9
	v_add_co_u32 v1, s8, v1, s8
	s_delay_alu instid0(VALU_DEP_1) | instskip(SKIP_2) | instid1(VALU_DEP_1)
	s_cmp_lg_u32 s8, 0
	s_addc_u32 s3, s3, s9
	s_ashr_i32 s8, s21, 31
	v_readfirstlane_b32 s12, v1
	s_add_u32 s10, s20, s8
	s_mov_b32 s9, s8
	s_addc_u32 s11, s21, s8
	s_delay_alu instid0(SALU_CYCLE_1) | instskip(NEXT) | instid1(SALU_CYCLE_1)
	s_xor_b64 s[10:11], s[10:11], s[8:9]
	s_mul_i32 s16, s10, s3
	s_mul_hi_u32 s17, s10, s12
	s_mul_hi_u32 s15, s10, s3
	s_mul_hi_u32 s19, s11, s12
	s_mul_i32 s12, s11, s12
	s_add_u32 s16, s17, s16
	s_addc_u32 s15, 0, s15
	s_mul_hi_u32 s18, s11, s3
	s_add_u32 s12, s16, s12
	s_mul_i32 s3, s11, s3
	s_addc_u32 s12, s15, s19
	s_addc_u32 s15, s18, 0
	s_add_u32 s3, s12, s3
	s_addc_u32 s12, 0, s15
	s_mul_i32 s18, s6, s3
	s_mul_hi_u32 s15, s6, s3
	s_mul_i32 s17, s6, s12
	v_sub_co_u32 v1, s10, s10, s18
	s_mul_i32 s16, s7, s3
	s_add_i32 s15, s15, s17
	s_delay_alu instid0(SALU_CYCLE_1) | instskip(NEXT) | instid1(VALU_DEP_1)
	s_add_i32 s15, s15, s16
	v_sub_co_u32 v2, s17, v1, s6
	s_sub_i32 s16, s11, s15
	s_cmp_lg_u32 s10, 0
	s_subb_u32 s16, s16, s7
	s_cmp_lg_u32 s17, 0
	v_readfirstlane_b32 s17, v2
	s_subb_u32 s16, s16, 0
	s_delay_alu instid0(SALU_CYCLE_1) | instskip(SKIP_1) | instid1(VALU_DEP_1)
	s_cmp_ge_u32 s16, s7
	s_cselect_b32 s18, -1, 0
	s_cmp_ge_u32 s17, s6
	s_cselect_b32 s17, -1, 0
	s_cmp_eq_u32 s16, s7
	s_cselect_b32 s16, s17, s18
	s_add_u32 s17, s3, 1
	s_addc_u32 s18, s12, 0
	s_add_u32 s19, s3, 2
	s_addc_u32 s24, s12, 0
	s_cmp_lg_u32 s16, 0
	s_cselect_b32 s16, s19, s17
	s_cselect_b32 s17, s24, s18
	s_cmp_lg_u32 s10, 0
	v_readfirstlane_b32 s10, v1
	s_subb_u32 s11, s11, s15
	s_delay_alu instid0(SALU_CYCLE_1) | instskip(SKIP_1) | instid1(VALU_DEP_1)
	s_cmp_ge_u32 s11, s7
	s_cselect_b32 s15, -1, 0
	s_cmp_ge_u32 s10, s6
	s_cselect_b32 s6, -1, 0
	s_cmp_eq_u32 s11, s7
	s_cselect_b32 s6, s6, s15
	s_delay_alu instid0(SALU_CYCLE_1) | instskip(SKIP_3) | instid1(SALU_CYCLE_1)
	s_cmp_lg_u32 s6, 0
	s_cselect_b32 s7, s17, s12
	s_cselect_b32 s6, s16, s3
	s_xor_b64 s[4:5], s[8:9], s[4:5]
	s_xor_b64 s[6:7], s[6:7], s[4:5]
	s_delay_alu instid0(SALU_CYCLE_1)
	s_sub_u32 s24, s6, s4
	s_subb_u32 s25, s7, s5
	s_load_b32 s3, s[0:1], 0xc4
	s_and_not1_b32 vcc_lo, exec_lo, s2
	s_cbranch_vccnz .LBB13_3
.LBB13_2:
	v_cvt_f32_u32_e32 v1, s22
	s_sub_i32 s4, 0, s22
	s_mov_b32 s25, 0
	s_delay_alu instid0(VALU_DEP_1) | instskip(SKIP_2) | instid1(VALU_DEP_1)
	v_rcp_iflag_f32_e32 v1, v1
	s_waitcnt_depctr 0xfff
	v_mul_f32_e32 v1, 0x4f7ffffe, v1
	v_cvt_u32_f32_e32 v1, v1
	s_delay_alu instid0(VALU_DEP_1) | instskip(NEXT) | instid1(VALU_DEP_1)
	v_readfirstlane_b32 s2, v1
	s_mul_i32 s4, s4, s2
	s_delay_alu instid0(SALU_CYCLE_1) | instskip(NEXT) | instid1(SALU_CYCLE_1)
	s_mul_hi_u32 s4, s2, s4
	s_add_i32 s2, s2, s4
	s_delay_alu instid0(SALU_CYCLE_1) | instskip(NEXT) | instid1(SALU_CYCLE_1)
	s_mul_hi_u32 s2, s20, s2
	s_mul_i32 s4, s2, s22
	s_add_i32 s5, s2, 1
	s_sub_i32 s4, s20, s4
	s_delay_alu instid0(SALU_CYCLE_1)
	s_sub_i32 s6, s4, s22
	s_cmp_ge_u32 s4, s22
	s_cselect_b32 s2, s5, s2
	s_cselect_b32 s4, s6, s4
	s_add_i32 s5, s2, 1
	s_cmp_ge_u32 s4, s22
	s_cselect_b32 s24, s5, s2
.LBB13_3:
	s_load_b128 s[4:7], s[0:1], 0x18
	v_bfe_u32 v2, v0, 10, 10
	v_dual_mov_b32 v5, 0 :: v_dual_and_b32 v4, 0x3ff, v0
	s_waitcnt lgkmcnt(0)
	s_lshr_b32 s2, s3, 16
	s_and_b32 s3, s3, 0xffff
	v_mad_u64_u32 v[0:1], null, s14, s2, v[2:3]
	v_mad_u64_u32 v[2:3], null, s3, s13, v[4:5]
	v_mov_b32_e32 v1, v5
	s_delay_alu instid0(VALU_DEP_1) | instskip(NEXT) | instid1(VALU_DEP_3)
	v_cmp_gt_i64_e32 vcc_lo, s[4:5], v[0:1]
	v_cmp_gt_i64_e64 s2, s[6:7], v[2:3]
	s_delay_alu instid0(VALU_DEP_1) | instskip(NEXT) | instid1(SALU_CYCLE_1)
	s_and_b32 s2, vcc_lo, s2
	s_and_saveexec_b32 s3, s2
	s_cbranch_execz .LBB13_7
; %bb.4:
	s_clause 0x1
	s_load_b256 s[4:11], s[0:1], 0x90
	s_load_b256 s[12:19], s[0:1], 0x70
	s_mul_i32 s2, s24, s23
	s_mul_hi_u32 s3, s24, s22
	s_mul_i32 s26, s25, s22
	s_mul_i32 s27, s24, s22
	s_load_b64 s[22:23], s[0:1], 0x48
	s_add_i32 s2, s3, s2
	s_delay_alu instid0(SALU_CYCLE_1)
	s_add_i32 s2, s2, s26
	s_waitcnt lgkmcnt(0)
	s_mul_i32 s3, s8, s7
	v_mad_u64_u32 v[4:5], null, s16, v0, 0
	s_mul_hi_u32 s7, s8, s6
	s_mul_i32 s9, s9, s6
	s_mul_i32 s6, s8, s6
	s_add_i32 s3, s7, s3
	s_mul_i32 s7, s6, s11
	s_mul_hi_u32 s8, s6, s10
	s_add_i32 s3, s3, s9
	v_mov_b32_e32 v1, v5
	s_add_i32 s7, s8, s7
	s_mul_i32 s3, s3, s10
	s_mul_i32 s26, s12, s25
	s_mul_hi_u32 s28, s12, s24
	s_add_i32 s7, s7, s3
	s_sub_u32 s3, s20, s27
	s_mul_i32 s13, s13, s24
	s_subb_u32 s16, s21, s2
	s_add_i32 s2, s28, s26
	v_mad_u64_u32 v[5:6], null, s17, v0, v[1:2]
	v_mul_lo_u32 v1, s19, v2
	v_mul_lo_u32 v8, s18, v3
	v_mad_u64_u32 v[6:7], null, s18, v2, 0
	s_mul_i32 s8, s12, s24
	s_add_i32 s9, s2, s13
	s_mul_hi_u32 s2, s14, s3
	s_lshl_b64 s[8:9], s[8:9], 3
	s_mul_i32 s11, s14, s16
	s_add_u32 s12, s22, s8
	s_addc_u32 s13, s23, s9
	s_add_i32 s2, s2, s11
	s_mul_i32 s8, s15, s3
	v_add3_u32 v7, v7, v8, v1
	s_add_i32 s9, s2, s8
	s_mul_i32 s8, s14, s3
	v_lshlrev_b64 v[4:5], 3, v[4:5]
	s_lshl_b64 s[8:9], s[8:9], 3
	v_lshlrev_b64 v[6:7], 3, v[6:7]
	s_add_u32 s2, s12, s8
	s_addc_u32 s8, s13, s9
	s_mul_i32 s6, s6, s10
	v_add_co_u32 v1, vcc_lo, s2, v4
	v_add_co_ci_u32_e32 v5, vcc_lo, s8, v5, vcc_lo
	s_delay_alu instid0(VALU_DEP_2) | instskip(NEXT) | instid1(VALU_DEP_2)
	v_add_co_u32 v4, vcc_lo, v1, v6
	v_add_co_ci_u32_e32 v5, vcc_lo, v5, v7, vcc_lo
	global_load_b64 v[4:5], v[4:5], off
	s_waitcnt vmcnt(0)
	v_cmp_lt_i64_e32 vcc_lo, -1, v[4:5]
	v_cmp_gt_i64_e64 s2, s[6:7], v[4:5]
	s_delay_alu instid0(VALU_DEP_1) | instskip(NEXT) | instid1(SALU_CYCLE_1)
	s_and_b32 s2, vcc_lo, s2
	s_and_saveexec_b32 s8, s2
	s_delay_alu instid0(SALU_CYCLE_1)
	s_xor_b32 s2, exec_lo, s8
	s_cbranch_execz .LBB13_6
; %bb.5:
	s_clause 0x1
	s_load_b256 s[8:15], s[0:1], 0x28
	s_load_b64 s[0:1], s[0:1], 0x0
	s_waitcnt lgkmcnt(0)
	v_mad_u64_u32 v[6:7], null, s12, v0, 0
	v_mul_lo_u32 v10, s15, v2
	v_mul_lo_u32 v11, s14, v3
	v_mad_u64_u32 v[8:9], null, s14, v2, 0
	s_mul_i32 s12, s8, s25
	s_mul_hi_u32 s17, s8, s24
	s_delay_alu instid0(VALU_DEP_4)
	v_mov_b32_e32 v1, v7
	s_mul_i32 s9, s9, s24
	s_add_i32 s12, s17, s12
	s_mul_i32 s8, s8, s24
	s_add_i32 s9, s12, s9
	v_mad_u64_u32 v[2:3], null, s13, v0, v[1:2]
	s_lshl_b64 s[8:9], s[8:9], 1
	s_mul_i32 s13, s10, s16
	s_mul_hi_u32 s12, s10, s3
	s_add_u32 s8, s0, s8
	s_mul_i32 s11, s11, s3
	s_addc_u32 s9, s1, s9
	s_delay_alu instid0(VALU_DEP_1)
	v_mov_b32_e32 v7, v2
	s_add_i32 s1, s12, s13
	v_add3_u32 v9, v9, v11, v10
	s_mul_i32 s0, s10, s3
	s_add_i32 s1, s1, s11
	v_lshlrev_b64 v[0:1], 1, v[6:7]
	s_lshl_b64 s[0:1], s[0:1], 1
	v_lshlrev_b64 v[2:3], 1, v[8:9]
	s_add_u32 s0, s8, s0
	s_addc_u32 s1, s9, s1
	s_delay_alu instid0(VALU_DEP_2) | instskip(SKIP_2) | instid1(VALU_DEP_2)
	v_add_co_u32 v0, vcc_lo, s0, v0
	v_add_co_ci_u32_e32 v1, vcc_lo, s1, v1, vcc_lo
	s_mul_i32 s0, s6, s25
	v_add_co_u32 v0, vcc_lo, v0, v2
	s_delay_alu instid0(VALU_DEP_2) | instskip(SKIP_1) | instid1(SALU_CYCLE_1)
	v_add_co_ci_u32_e32 v1, vcc_lo, v1, v3, vcc_lo
	s_mul_hi_u32 s1, s6, s24
	s_add_i32 s0, s1, s0
	global_load_u16 v2, v[0:1], off
	s_mul_i32 s1, s7, s24
	v_lshlrev_b64 v[0:1], 1, v[4:5]
	s_add_i32 s1, s0, s1
	s_mul_i32 s0, s6, s24
	s_delay_alu instid0(SALU_CYCLE_1) | instskip(NEXT) | instid1(SALU_CYCLE_1)
	s_lshl_b64 s[0:1], s[0:1], 1
	s_add_u32 s0, s4, s0
	s_addc_u32 s1, s5, s1
	v_add_co_u32 v0, vcc_lo, s0, v0
	v_add_co_ci_u32_e32 v1, vcc_lo, s1, v1, vcc_lo
	s_waitcnt vmcnt(0)
	global_store_b16 v[0:1], v2, off
.LBB13_6:
	s_and_not1_saveexec_b32 s0, s2
	s_cbranch_execnz .LBB13_9
.LBB13_7:
	s_nop 0
	s_sendmsg sendmsg(MSG_DEALLOC_VGPRS)
	s_endpgm
.LBB13_8:
                                        ; implicit-def: $sgpr24_sgpr25
	s_load_b32 s3, s[0:1], 0xc4
	s_branch .LBB13_2
.LBB13_9:
	s_cbranch_execnz .LBB13_11
; %bb.10:
	; divergent unreachable
	s_nop 0
	s_sendmsg sendmsg(MSG_DEALLOC_VGPRS)
	s_endpgm
.LBB13_11:
	s_trap 2
	s_sendmsg_rtn_b32 s0, sendmsg(MSG_RTN_GET_DOORBELL)
	s_mov_b32 ttmp2, m0
	s_waitcnt lgkmcnt(0)
	s_and_b32 s0, s0, 0x3ff
	s_delay_alu instid0(SALU_CYCLE_1) | instskip(NEXT) | instid1(SALU_CYCLE_1)
	s_bitset1_b32 s0, 10
	s_mov_b32 m0, s0
	s_sendmsg sendmsg(MSG_INTERRUPT)
	s_mov_b32 m0, ttmp2
.LBB13_12:                              ; =>This Inner Loop Header: Depth=1
	s_sethalt 5
	s_branch .LBB13_12
	.section	.rodata,"a",@progbits
	.p2align	6, 0x0
	.amdhsa_kernel _ZN2at6native30max_unpooling3d_forward_kernelIsEEvN5torch10headeronly6detail27GenericPackedTensorAccessorINS4_14TensorAccessorIN3c108ArrayRefIlEEKT_Lm3ENS3_16DefaultPtrTraitsElEENS_6detail16IndexBoundsCheckILm4ElEESB_Lm4ESC_lEENS5_INS6_IS9_KlLm3ESC_lEESG_SI_Lm4ESC_lEEPSA_llll
		.amdhsa_group_segment_fixed_size 0
		.amdhsa_private_segment_fixed_size 0
		.amdhsa_kernarg_size 440
		.amdhsa_user_sgpr_count 13
		.amdhsa_user_sgpr_dispatch_ptr 0
		.amdhsa_user_sgpr_queue_ptr 0
		.amdhsa_user_sgpr_kernarg_segment_ptr 1
		.amdhsa_user_sgpr_dispatch_id 0
		.amdhsa_user_sgpr_private_segment_size 0
		.amdhsa_wavefront_size32 1
		.amdhsa_uses_dynamic_stack 0
		.amdhsa_enable_private_segment 0
		.amdhsa_system_sgpr_workgroup_id_x 1
		.amdhsa_system_sgpr_workgroup_id_y 1
		.amdhsa_system_sgpr_workgroup_id_z 1
		.amdhsa_system_sgpr_workgroup_info 0
		.amdhsa_system_vgpr_workitem_id 1
		.amdhsa_next_free_vgpr 12
		.amdhsa_next_free_sgpr 29
		.amdhsa_reserve_vcc 1
		.amdhsa_float_round_mode_32 0
		.amdhsa_float_round_mode_16_64 0
		.amdhsa_float_denorm_mode_32 3
		.amdhsa_float_denorm_mode_16_64 3
		.amdhsa_dx10_clamp 1
		.amdhsa_ieee_mode 1
		.amdhsa_fp16_overflow 0
		.amdhsa_workgroup_processor_mode 1
		.amdhsa_memory_ordered 1
		.amdhsa_forward_progress 0
		.amdhsa_shared_vgpr_count 0
		.amdhsa_exception_fp_ieee_invalid_op 0
		.amdhsa_exception_fp_denorm_src 0
		.amdhsa_exception_fp_ieee_div_zero 0
		.amdhsa_exception_fp_ieee_overflow 0
		.amdhsa_exception_fp_ieee_underflow 0
		.amdhsa_exception_fp_ieee_inexact 0
		.amdhsa_exception_int_div_zero 0
	.end_amdhsa_kernel
	.section	.text._ZN2at6native30max_unpooling3d_forward_kernelIsEEvN5torch10headeronly6detail27GenericPackedTensorAccessorINS4_14TensorAccessorIN3c108ArrayRefIlEEKT_Lm3ENS3_16DefaultPtrTraitsElEENS_6detail16IndexBoundsCheckILm4ElEESB_Lm4ESC_lEENS5_INS6_IS9_KlLm3ESC_lEESG_SI_Lm4ESC_lEEPSA_llll,"axG",@progbits,_ZN2at6native30max_unpooling3d_forward_kernelIsEEvN5torch10headeronly6detail27GenericPackedTensorAccessorINS4_14TensorAccessorIN3c108ArrayRefIlEEKT_Lm3ENS3_16DefaultPtrTraitsElEENS_6detail16IndexBoundsCheckILm4ElEESB_Lm4ESC_lEENS5_INS6_IS9_KlLm3ESC_lEESG_SI_Lm4ESC_lEEPSA_llll,comdat
.Lfunc_end13:
	.size	_ZN2at6native30max_unpooling3d_forward_kernelIsEEvN5torch10headeronly6detail27GenericPackedTensorAccessorINS4_14TensorAccessorIN3c108ArrayRefIlEEKT_Lm3ENS3_16DefaultPtrTraitsElEENS_6detail16IndexBoundsCheckILm4ElEESB_Lm4ESC_lEENS5_INS6_IS9_KlLm3ESC_lEESG_SI_Lm4ESC_lEEPSA_llll, .Lfunc_end13-_ZN2at6native30max_unpooling3d_forward_kernelIsEEvN5torch10headeronly6detail27GenericPackedTensorAccessorINS4_14TensorAccessorIN3c108ArrayRefIlEEKT_Lm3ENS3_16DefaultPtrTraitsElEENS_6detail16IndexBoundsCheckILm4ElEESB_Lm4ESC_lEENS5_INS6_IS9_KlLm3ESC_lEESG_SI_Lm4ESC_lEEPSA_llll
                                        ; -- End function
	.section	.AMDGPU.csdata,"",@progbits
; Kernel info:
; codeLenInByte = 1612
; NumSgprs: 31
; NumVgprs: 12
; ScratchSize: 0
; MemoryBound: 0
; FloatMode: 240
; IeeeMode: 1
; LDSByteSize: 0 bytes/workgroup (compile time only)
; SGPRBlocks: 3
; VGPRBlocks: 1
; NumSGPRsForWavesPerEU: 31
; NumVGPRsForWavesPerEU: 12
; Occupancy: 16
; WaveLimiterHint : 1
; COMPUTE_PGM_RSRC2:SCRATCH_EN: 0
; COMPUTE_PGM_RSRC2:USER_SGPR: 13
; COMPUTE_PGM_RSRC2:TRAP_HANDLER: 0
; COMPUTE_PGM_RSRC2:TGID_X_EN: 1
; COMPUTE_PGM_RSRC2:TGID_Y_EN: 1
; COMPUTE_PGM_RSRC2:TGID_Z_EN: 1
; COMPUTE_PGM_RSRC2:TIDIG_COMP_CNT: 1
	.section	.text._ZN2at6native30max_unpooling3d_forward_kernelIdEEvN5torch10headeronly6detail27GenericPackedTensorAccessorINS4_14TensorAccessorIN3c108ArrayRefIlEEKT_Lm3ENS3_16DefaultPtrTraitsElEENS_6detail16IndexBoundsCheckILm4ElEESB_Lm4ESC_lEENS5_INS6_IS9_KlLm3ESC_lEESG_SI_Lm4ESC_lEEPSA_llll,"axG",@progbits,_ZN2at6native30max_unpooling3d_forward_kernelIdEEvN5torch10headeronly6detail27GenericPackedTensorAccessorINS4_14TensorAccessorIN3c108ArrayRefIlEEKT_Lm3ENS3_16DefaultPtrTraitsElEENS_6detail16IndexBoundsCheckILm4ElEESB_Lm4ESC_lEENS5_INS6_IS9_KlLm3ESC_lEESG_SI_Lm4ESC_lEEPSA_llll,comdat
	.protected	_ZN2at6native30max_unpooling3d_forward_kernelIdEEvN5torch10headeronly6detail27GenericPackedTensorAccessorINS4_14TensorAccessorIN3c108ArrayRefIlEEKT_Lm3ENS3_16DefaultPtrTraitsElEENS_6detail16IndexBoundsCheckILm4ElEESB_Lm4ESC_lEENS5_INS6_IS9_KlLm3ESC_lEESG_SI_Lm4ESC_lEEPSA_llll ; -- Begin function _ZN2at6native30max_unpooling3d_forward_kernelIdEEvN5torch10headeronly6detail27GenericPackedTensorAccessorINS4_14TensorAccessorIN3c108ArrayRefIlEEKT_Lm3ENS3_16DefaultPtrTraitsElEENS_6detail16IndexBoundsCheckILm4ElEESB_Lm4ESC_lEENS5_INS6_IS9_KlLm3ESC_lEESG_SI_Lm4ESC_lEEPSA_llll
	.globl	_ZN2at6native30max_unpooling3d_forward_kernelIdEEvN5torch10headeronly6detail27GenericPackedTensorAccessorINS4_14TensorAccessorIN3c108ArrayRefIlEEKT_Lm3ENS3_16DefaultPtrTraitsElEENS_6detail16IndexBoundsCheckILm4ElEESB_Lm4ESC_lEENS5_INS6_IS9_KlLm3ESC_lEESG_SI_Lm4ESC_lEEPSA_llll
	.p2align	8
	.type	_ZN2at6native30max_unpooling3d_forward_kernelIdEEvN5torch10headeronly6detail27GenericPackedTensorAccessorINS4_14TensorAccessorIN3c108ArrayRefIlEEKT_Lm3ENS3_16DefaultPtrTraitsElEENS_6detail16IndexBoundsCheckILm4ElEESB_Lm4ESC_lEENS5_INS6_IS9_KlLm3ESC_lEESG_SI_Lm4ESC_lEEPSA_llll,@function
_ZN2at6native30max_unpooling3d_forward_kernelIdEEvN5torch10headeronly6detail27GenericPackedTensorAccessorINS4_14TensorAccessorIN3c108ArrayRefIlEEKT_Lm3ENS3_16DefaultPtrTraitsElEENS_6detail16IndexBoundsCheckILm4ElEESB_Lm4ESC_lEENS5_INS6_IS9_KlLm3ESC_lEESG_SI_Lm4ESC_lEEPSA_llll: ; @_ZN2at6native30max_unpooling3d_forward_kernelIdEEvN5torch10headeronly6detail27GenericPackedTensorAccessorINS4_14TensorAccessorIN3c108ArrayRefIlEEKT_Lm3ENS3_16DefaultPtrTraitsElEENS_6detail16IndexBoundsCheckILm4ElEESB_Lm4ESC_lEENS5_INS6_IS9_KlLm3ESC_lEESG_SI_Lm4ESC_lEEPSA_llll
; %bb.0:
	s_clause 0x1
	s_load_b64 s[2:3], s[0:1], 0xb0
	s_load_b64 s[22:23], s[0:1], 0x10
	s_waitcnt lgkmcnt(0)
	s_add_u32 s20, s15, s2
	s_addc_u32 s21, 0, s3
	s_delay_alu instid0(SALU_CYCLE_1) | instskip(SKIP_1) | instid1(SALU_CYCLE_1)
	s_or_b64 s[2:3], s[20:21], s[22:23]
	s_mov_b32 s2, 0
	s_cmp_lg_u64 s[2:3], 0
	s_cbranch_scc0 .LBB14_8
; %bb.1:
	s_ashr_i32 s4, s23, 31
	s_delay_alu instid0(SALU_CYCLE_1) | instskip(SKIP_2) | instid1(SALU_CYCLE_1)
	s_add_u32 s6, s22, s4
	s_mov_b32 s5, s4
	s_addc_u32 s7, s23, s4
	s_xor_b64 s[6:7], s[6:7], s[4:5]
	s_delay_alu instid0(SALU_CYCLE_1) | instskip(SKIP_3) | instid1(VALU_DEP_1)
	v_cvt_f32_u32_e32 v1, s6
	v_cvt_f32_u32_e32 v2, s7
	s_sub_u32 s9, 0, s6
	s_subb_u32 s10, 0, s7
	v_fmamk_f32 v1, v2, 0x4f800000, v1
	s_delay_alu instid0(VALU_DEP_1) | instskip(SKIP_2) | instid1(VALU_DEP_1)
	v_rcp_f32_e32 v1, v1
	s_waitcnt_depctr 0xfff
	v_mul_f32_e32 v1, 0x5f7ffffc, v1
	v_mul_f32_e32 v2, 0x2f800000, v1
	s_delay_alu instid0(VALU_DEP_1) | instskip(NEXT) | instid1(VALU_DEP_1)
	v_trunc_f32_e32 v2, v2
	v_fmamk_f32 v1, v2, 0xcf800000, v1
	v_cvt_u32_f32_e32 v2, v2
	s_delay_alu instid0(VALU_DEP_2) | instskip(NEXT) | instid1(VALU_DEP_2)
	v_cvt_u32_f32_e32 v1, v1
	v_readfirstlane_b32 s3, v2
	s_delay_alu instid0(VALU_DEP_2) | instskip(NEXT) | instid1(VALU_DEP_2)
	v_readfirstlane_b32 s8, v1
	s_mul_i32 s11, s9, s3
	s_delay_alu instid0(VALU_DEP_1)
	s_mul_hi_u32 s15, s9, s8
	s_mul_i32 s12, s10, s8
	s_add_i32 s11, s15, s11
	s_mul_i32 s16, s9, s8
	s_add_i32 s11, s11, s12
	s_mul_hi_u32 s15, s8, s16
	s_mul_hi_u32 s17, s3, s16
	s_mul_i32 s12, s3, s16
	s_mul_hi_u32 s16, s8, s11
	s_mul_i32 s8, s8, s11
	s_mul_hi_u32 s18, s3, s11
	s_add_u32 s8, s15, s8
	s_addc_u32 s15, 0, s16
	s_add_u32 s8, s8, s12
	s_mul_i32 s11, s3, s11
	s_addc_u32 s8, s15, s17
	s_addc_u32 s12, s18, 0
	s_add_u32 s8, s8, s11
	s_addc_u32 s11, 0, s12
	v_add_co_u32 v1, s8, v1, s8
	s_delay_alu instid0(VALU_DEP_1) | instskip(SKIP_1) | instid1(VALU_DEP_1)
	s_cmp_lg_u32 s8, 0
	s_addc_u32 s3, s3, s11
	v_readfirstlane_b32 s8, v1
	s_mul_i32 s11, s9, s3
	s_delay_alu instid0(VALU_DEP_1)
	s_mul_hi_u32 s12, s9, s8
	s_mul_i32 s10, s10, s8
	s_add_i32 s11, s12, s11
	s_mul_i32 s9, s9, s8
	s_add_i32 s11, s11, s10
	s_mul_hi_u32 s12, s3, s9
	s_mul_i32 s15, s3, s9
	s_mul_hi_u32 s9, s8, s9
	s_mul_hi_u32 s16, s8, s11
	s_mul_i32 s8, s8, s11
	s_mul_hi_u32 s10, s3, s11
	s_add_u32 s8, s9, s8
	s_addc_u32 s9, 0, s16
	s_add_u32 s8, s8, s15
	s_mul_i32 s11, s3, s11
	s_addc_u32 s8, s9, s12
	s_addc_u32 s9, s10, 0
	s_add_u32 s8, s8, s11
	s_addc_u32 s9, 0, s9
	v_add_co_u32 v1, s8, v1, s8
	s_delay_alu instid0(VALU_DEP_1) | instskip(SKIP_2) | instid1(VALU_DEP_1)
	s_cmp_lg_u32 s8, 0
	s_addc_u32 s3, s3, s9
	s_ashr_i32 s8, s21, 31
	v_readfirstlane_b32 s12, v1
	s_add_u32 s10, s20, s8
	s_mov_b32 s9, s8
	s_addc_u32 s11, s21, s8
	s_delay_alu instid0(SALU_CYCLE_1) | instskip(NEXT) | instid1(SALU_CYCLE_1)
	s_xor_b64 s[10:11], s[10:11], s[8:9]
	s_mul_i32 s16, s10, s3
	s_mul_hi_u32 s17, s10, s12
	s_mul_hi_u32 s15, s10, s3
	;; [unrolled: 1-line block ×3, first 2 shown]
	s_mul_i32 s12, s11, s12
	s_add_u32 s16, s17, s16
	s_addc_u32 s15, 0, s15
	s_mul_hi_u32 s18, s11, s3
	s_add_u32 s12, s16, s12
	s_mul_i32 s3, s11, s3
	s_addc_u32 s12, s15, s19
	s_addc_u32 s15, s18, 0
	s_add_u32 s3, s12, s3
	s_addc_u32 s12, 0, s15
	s_mul_i32 s18, s6, s3
	s_mul_hi_u32 s15, s6, s3
	s_mul_i32 s17, s6, s12
	v_sub_co_u32 v1, s10, s10, s18
	s_mul_i32 s16, s7, s3
	s_add_i32 s15, s15, s17
	s_delay_alu instid0(SALU_CYCLE_1) | instskip(NEXT) | instid1(VALU_DEP_1)
	s_add_i32 s15, s15, s16
	v_sub_co_u32 v2, s17, v1, s6
	s_sub_i32 s16, s11, s15
	s_cmp_lg_u32 s10, 0
	s_subb_u32 s16, s16, s7
	s_cmp_lg_u32 s17, 0
	v_readfirstlane_b32 s17, v2
	s_subb_u32 s16, s16, 0
	s_delay_alu instid0(SALU_CYCLE_1) | instskip(SKIP_1) | instid1(VALU_DEP_1)
	s_cmp_ge_u32 s16, s7
	s_cselect_b32 s18, -1, 0
	s_cmp_ge_u32 s17, s6
	s_cselect_b32 s17, -1, 0
	s_cmp_eq_u32 s16, s7
	s_cselect_b32 s16, s17, s18
	s_add_u32 s17, s3, 1
	s_addc_u32 s18, s12, 0
	s_add_u32 s19, s3, 2
	s_addc_u32 s24, s12, 0
	s_cmp_lg_u32 s16, 0
	s_cselect_b32 s16, s19, s17
	s_cselect_b32 s17, s24, s18
	s_cmp_lg_u32 s10, 0
	v_readfirstlane_b32 s10, v1
	s_subb_u32 s11, s11, s15
	s_delay_alu instid0(SALU_CYCLE_1) | instskip(SKIP_1) | instid1(VALU_DEP_1)
	s_cmp_ge_u32 s11, s7
	s_cselect_b32 s15, -1, 0
	s_cmp_ge_u32 s10, s6
	s_cselect_b32 s6, -1, 0
	s_cmp_eq_u32 s11, s7
	s_cselect_b32 s6, s6, s15
	s_delay_alu instid0(SALU_CYCLE_1) | instskip(SKIP_3) | instid1(SALU_CYCLE_1)
	s_cmp_lg_u32 s6, 0
	s_cselect_b32 s7, s17, s12
	s_cselect_b32 s6, s16, s3
	s_xor_b64 s[4:5], s[8:9], s[4:5]
	s_xor_b64 s[6:7], s[6:7], s[4:5]
	s_delay_alu instid0(SALU_CYCLE_1)
	s_sub_u32 s24, s6, s4
	s_subb_u32 s25, s7, s5
	s_load_b32 s3, s[0:1], 0xc4
	s_and_not1_b32 vcc_lo, exec_lo, s2
	s_cbranch_vccnz .LBB14_3
.LBB14_2:
	v_cvt_f32_u32_e32 v1, s22
	s_sub_i32 s4, 0, s22
	s_mov_b32 s25, 0
	s_delay_alu instid0(VALU_DEP_1) | instskip(SKIP_2) | instid1(VALU_DEP_1)
	v_rcp_iflag_f32_e32 v1, v1
	s_waitcnt_depctr 0xfff
	v_mul_f32_e32 v1, 0x4f7ffffe, v1
	v_cvt_u32_f32_e32 v1, v1
	s_delay_alu instid0(VALU_DEP_1) | instskip(NEXT) | instid1(VALU_DEP_1)
	v_readfirstlane_b32 s2, v1
	s_mul_i32 s4, s4, s2
	s_delay_alu instid0(SALU_CYCLE_1) | instskip(NEXT) | instid1(SALU_CYCLE_1)
	s_mul_hi_u32 s4, s2, s4
	s_add_i32 s2, s2, s4
	s_delay_alu instid0(SALU_CYCLE_1) | instskip(NEXT) | instid1(SALU_CYCLE_1)
	s_mul_hi_u32 s2, s20, s2
	s_mul_i32 s4, s2, s22
	s_add_i32 s5, s2, 1
	s_sub_i32 s4, s20, s4
	s_delay_alu instid0(SALU_CYCLE_1)
	s_sub_i32 s6, s4, s22
	s_cmp_ge_u32 s4, s22
	s_cselect_b32 s2, s5, s2
	s_cselect_b32 s4, s6, s4
	s_add_i32 s5, s2, 1
	s_cmp_ge_u32 s4, s22
	s_cselect_b32 s24, s5, s2
.LBB14_3:
	s_load_b128 s[4:7], s[0:1], 0x18
	v_bfe_u32 v2, v0, 10, 10
	v_dual_mov_b32 v5, 0 :: v_dual_and_b32 v4, 0x3ff, v0
	s_waitcnt lgkmcnt(0)
	s_lshr_b32 s2, s3, 16
	s_and_b32 s3, s3, 0xffff
	v_mad_u64_u32 v[0:1], null, s14, s2, v[2:3]
	v_mad_u64_u32 v[2:3], null, s3, s13, v[4:5]
	v_mov_b32_e32 v1, v5
	s_delay_alu instid0(VALU_DEP_1) | instskip(NEXT) | instid1(VALU_DEP_3)
	v_cmp_gt_i64_e32 vcc_lo, s[4:5], v[0:1]
	v_cmp_gt_i64_e64 s2, s[6:7], v[2:3]
	s_delay_alu instid0(VALU_DEP_1) | instskip(NEXT) | instid1(SALU_CYCLE_1)
	s_and_b32 s2, vcc_lo, s2
	s_and_saveexec_b32 s3, s2
	s_cbranch_execz .LBB14_7
; %bb.4:
	s_clause 0x1
	s_load_b256 s[4:11], s[0:1], 0x90
	s_load_b256 s[12:19], s[0:1], 0x70
	s_mul_i32 s2, s24, s23
	s_mul_hi_u32 s3, s24, s22
	s_mul_i32 s26, s25, s22
	s_mul_i32 s27, s24, s22
	s_load_b64 s[22:23], s[0:1], 0x48
	s_add_i32 s2, s3, s2
	s_delay_alu instid0(SALU_CYCLE_1)
	s_add_i32 s2, s2, s26
	s_waitcnt lgkmcnt(0)
	s_mul_i32 s3, s8, s7
	v_mad_u64_u32 v[4:5], null, s16, v0, 0
	s_mul_hi_u32 s7, s8, s6
	s_mul_i32 s9, s9, s6
	s_mul_i32 s6, s8, s6
	s_add_i32 s3, s7, s3
	s_mul_i32 s7, s6, s11
	s_mul_hi_u32 s8, s6, s10
	s_add_i32 s3, s3, s9
	v_mov_b32_e32 v1, v5
	s_add_i32 s7, s8, s7
	s_mul_i32 s3, s3, s10
	s_mul_i32 s26, s12, s25
	s_mul_hi_u32 s28, s12, s24
	s_add_i32 s7, s7, s3
	s_sub_u32 s3, s20, s27
	s_mul_i32 s13, s13, s24
	s_subb_u32 s16, s21, s2
	s_add_i32 s2, s28, s26
	v_mad_u64_u32 v[5:6], null, s17, v0, v[1:2]
	v_mul_lo_u32 v1, s19, v2
	v_mul_lo_u32 v8, s18, v3
	v_mad_u64_u32 v[6:7], null, s18, v2, 0
	s_mul_i32 s8, s12, s24
	s_add_i32 s9, s2, s13
	s_mul_hi_u32 s2, s14, s3
	s_lshl_b64 s[8:9], s[8:9], 3
	s_mul_i32 s11, s14, s16
	s_add_u32 s12, s22, s8
	s_addc_u32 s13, s23, s9
	s_add_i32 s2, s2, s11
	s_mul_i32 s8, s15, s3
	v_add3_u32 v7, v7, v8, v1
	s_add_i32 s9, s2, s8
	s_mul_i32 s8, s14, s3
	v_lshlrev_b64 v[4:5], 3, v[4:5]
	s_lshl_b64 s[8:9], s[8:9], 3
	v_lshlrev_b64 v[6:7], 3, v[6:7]
	s_add_u32 s2, s12, s8
	s_addc_u32 s8, s13, s9
	s_mul_i32 s6, s6, s10
	v_add_co_u32 v1, vcc_lo, s2, v4
	v_add_co_ci_u32_e32 v5, vcc_lo, s8, v5, vcc_lo
	s_delay_alu instid0(VALU_DEP_2) | instskip(NEXT) | instid1(VALU_DEP_2)
	v_add_co_u32 v4, vcc_lo, v1, v6
	v_add_co_ci_u32_e32 v5, vcc_lo, v5, v7, vcc_lo
	global_load_b64 v[4:5], v[4:5], off
	s_waitcnt vmcnt(0)
	v_cmp_lt_i64_e32 vcc_lo, -1, v[4:5]
	v_cmp_gt_i64_e64 s2, s[6:7], v[4:5]
	s_delay_alu instid0(VALU_DEP_1) | instskip(NEXT) | instid1(SALU_CYCLE_1)
	s_and_b32 s2, vcc_lo, s2
	s_and_saveexec_b32 s8, s2
	s_delay_alu instid0(SALU_CYCLE_1)
	s_xor_b32 s2, exec_lo, s8
	s_cbranch_execz .LBB14_6
; %bb.5:
	s_clause 0x1
	s_load_b256 s[8:15], s[0:1], 0x28
	s_load_b64 s[0:1], s[0:1], 0x0
	s_waitcnt lgkmcnt(0)
	v_mad_u64_u32 v[6:7], null, s12, v0, 0
	v_mul_lo_u32 v10, s15, v2
	v_mul_lo_u32 v11, s14, v3
	v_mad_u64_u32 v[8:9], null, s14, v2, 0
	s_mul_i32 s12, s8, s25
	s_mul_hi_u32 s17, s8, s24
	s_delay_alu instid0(VALU_DEP_4)
	v_mov_b32_e32 v1, v7
	s_mul_i32 s9, s9, s24
	s_add_i32 s12, s17, s12
	s_mul_i32 s8, s8, s24
	s_add_i32 s9, s12, s9
	v_mad_u64_u32 v[2:3], null, s13, v0, v[1:2]
	s_lshl_b64 s[8:9], s[8:9], 3
	s_mul_i32 s13, s10, s16
	s_mul_hi_u32 s12, s10, s3
	s_add_u32 s8, s0, s8
	s_mul_i32 s11, s11, s3
	s_addc_u32 s9, s1, s9
	s_delay_alu instid0(VALU_DEP_1)
	v_mov_b32_e32 v7, v2
	s_add_i32 s1, s12, s13
	v_add3_u32 v9, v9, v11, v10
	s_mul_i32 s0, s10, s3
	s_add_i32 s1, s1, s11
	v_lshlrev_b64 v[0:1], 3, v[6:7]
	s_lshl_b64 s[0:1], s[0:1], 3
	v_lshlrev_b64 v[2:3], 3, v[8:9]
	s_add_u32 s0, s8, s0
	s_addc_u32 s1, s9, s1
	s_delay_alu instid0(VALU_DEP_2) | instskip(SKIP_2) | instid1(VALU_DEP_2)
	v_add_co_u32 v0, vcc_lo, s0, v0
	v_add_co_ci_u32_e32 v1, vcc_lo, s1, v1, vcc_lo
	s_mul_i32 s0, s6, s25
	v_add_co_u32 v0, vcc_lo, v0, v2
	s_delay_alu instid0(VALU_DEP_2)
	v_add_co_ci_u32_e32 v1, vcc_lo, v1, v3, vcc_lo
	s_mul_hi_u32 s1, s6, s24
	v_lshlrev_b64 v[2:3], 3, v[4:5]
	s_add_i32 s0, s1, s0
	global_load_b64 v[0:1], v[0:1], off
	s_mul_i32 s1, s7, s24
	s_delay_alu instid0(SALU_CYCLE_1) | instskip(SKIP_1) | instid1(SALU_CYCLE_1)
	s_add_i32 s1, s0, s1
	s_mul_i32 s0, s6, s24
	s_lshl_b64 s[0:1], s[0:1], 3
	s_delay_alu instid0(SALU_CYCLE_1)
	s_add_u32 s0, s4, s0
	s_addc_u32 s1, s5, s1
	v_add_co_u32 v2, vcc_lo, s0, v2
	v_add_co_ci_u32_e32 v3, vcc_lo, s1, v3, vcc_lo
	s_waitcnt vmcnt(0)
	global_store_b64 v[2:3], v[0:1], off
.LBB14_6:
	s_and_not1_saveexec_b32 s0, s2
	s_cbranch_execnz .LBB14_9
.LBB14_7:
	s_nop 0
	s_sendmsg sendmsg(MSG_DEALLOC_VGPRS)
	s_endpgm
.LBB14_8:
                                        ; implicit-def: $sgpr24_sgpr25
	s_load_b32 s3, s[0:1], 0xc4
	s_branch .LBB14_2
.LBB14_9:
	s_cbranch_execnz .LBB14_11
; %bb.10:
	; divergent unreachable
	s_nop 0
	s_sendmsg sendmsg(MSG_DEALLOC_VGPRS)
	s_endpgm
.LBB14_11:
	s_trap 2
	s_sendmsg_rtn_b32 s0, sendmsg(MSG_RTN_GET_DOORBELL)
	s_mov_b32 ttmp2, m0
	s_waitcnt lgkmcnt(0)
	s_and_b32 s0, s0, 0x3ff
	s_delay_alu instid0(SALU_CYCLE_1) | instskip(NEXT) | instid1(SALU_CYCLE_1)
	s_bitset1_b32 s0, 10
	s_mov_b32 m0, s0
	s_sendmsg sendmsg(MSG_INTERRUPT)
	s_mov_b32 m0, ttmp2
.LBB14_12:                              ; =>This Inner Loop Header: Depth=1
	s_sethalt 5
	s_branch .LBB14_12
	.section	.rodata,"a",@progbits
	.p2align	6, 0x0
	.amdhsa_kernel _ZN2at6native30max_unpooling3d_forward_kernelIdEEvN5torch10headeronly6detail27GenericPackedTensorAccessorINS4_14TensorAccessorIN3c108ArrayRefIlEEKT_Lm3ENS3_16DefaultPtrTraitsElEENS_6detail16IndexBoundsCheckILm4ElEESB_Lm4ESC_lEENS5_INS6_IS9_KlLm3ESC_lEESG_SI_Lm4ESC_lEEPSA_llll
		.amdhsa_group_segment_fixed_size 0
		.amdhsa_private_segment_fixed_size 0
		.amdhsa_kernarg_size 440
		.amdhsa_user_sgpr_count 13
		.amdhsa_user_sgpr_dispatch_ptr 0
		.amdhsa_user_sgpr_queue_ptr 0
		.amdhsa_user_sgpr_kernarg_segment_ptr 1
		.amdhsa_user_sgpr_dispatch_id 0
		.amdhsa_user_sgpr_private_segment_size 0
		.amdhsa_wavefront_size32 1
		.amdhsa_uses_dynamic_stack 0
		.amdhsa_enable_private_segment 0
		.amdhsa_system_sgpr_workgroup_id_x 1
		.amdhsa_system_sgpr_workgroup_id_y 1
		.amdhsa_system_sgpr_workgroup_id_z 1
		.amdhsa_system_sgpr_workgroup_info 0
		.amdhsa_system_vgpr_workitem_id 1
		.amdhsa_next_free_vgpr 12
		.amdhsa_next_free_sgpr 29
		.amdhsa_reserve_vcc 1
		.amdhsa_float_round_mode_32 0
		.amdhsa_float_round_mode_16_64 0
		.amdhsa_float_denorm_mode_32 3
		.amdhsa_float_denorm_mode_16_64 3
		.amdhsa_dx10_clamp 1
		.amdhsa_ieee_mode 1
		.amdhsa_fp16_overflow 0
		.amdhsa_workgroup_processor_mode 1
		.amdhsa_memory_ordered 1
		.amdhsa_forward_progress 0
		.amdhsa_shared_vgpr_count 0
		.amdhsa_exception_fp_ieee_invalid_op 0
		.amdhsa_exception_fp_denorm_src 0
		.amdhsa_exception_fp_ieee_div_zero 0
		.amdhsa_exception_fp_ieee_overflow 0
		.amdhsa_exception_fp_ieee_underflow 0
		.amdhsa_exception_fp_ieee_inexact 0
		.amdhsa_exception_int_div_zero 0
	.end_amdhsa_kernel
	.section	.text._ZN2at6native30max_unpooling3d_forward_kernelIdEEvN5torch10headeronly6detail27GenericPackedTensorAccessorINS4_14TensorAccessorIN3c108ArrayRefIlEEKT_Lm3ENS3_16DefaultPtrTraitsElEENS_6detail16IndexBoundsCheckILm4ElEESB_Lm4ESC_lEENS5_INS6_IS9_KlLm3ESC_lEESG_SI_Lm4ESC_lEEPSA_llll,"axG",@progbits,_ZN2at6native30max_unpooling3d_forward_kernelIdEEvN5torch10headeronly6detail27GenericPackedTensorAccessorINS4_14TensorAccessorIN3c108ArrayRefIlEEKT_Lm3ENS3_16DefaultPtrTraitsElEENS_6detail16IndexBoundsCheckILm4ElEESB_Lm4ESC_lEENS5_INS6_IS9_KlLm3ESC_lEESG_SI_Lm4ESC_lEEPSA_llll,comdat
.Lfunc_end14:
	.size	_ZN2at6native30max_unpooling3d_forward_kernelIdEEvN5torch10headeronly6detail27GenericPackedTensorAccessorINS4_14TensorAccessorIN3c108ArrayRefIlEEKT_Lm3ENS3_16DefaultPtrTraitsElEENS_6detail16IndexBoundsCheckILm4ElEESB_Lm4ESC_lEENS5_INS6_IS9_KlLm3ESC_lEESG_SI_Lm4ESC_lEEPSA_llll, .Lfunc_end14-_ZN2at6native30max_unpooling3d_forward_kernelIdEEvN5torch10headeronly6detail27GenericPackedTensorAccessorINS4_14TensorAccessorIN3c108ArrayRefIlEEKT_Lm3ENS3_16DefaultPtrTraitsElEENS_6detail16IndexBoundsCheckILm4ElEESB_Lm4ESC_lEENS5_INS6_IS9_KlLm3ESC_lEESG_SI_Lm4ESC_lEEPSA_llll
                                        ; -- End function
	.section	.AMDGPU.csdata,"",@progbits
; Kernel info:
; codeLenInByte = 1616
; NumSgprs: 31
; NumVgprs: 12
; ScratchSize: 0
; MemoryBound: 0
; FloatMode: 240
; IeeeMode: 1
; LDSByteSize: 0 bytes/workgroup (compile time only)
; SGPRBlocks: 3
; VGPRBlocks: 1
; NumSGPRsForWavesPerEU: 31
; NumVGPRsForWavesPerEU: 12
; Occupancy: 16
; WaveLimiterHint : 1
; COMPUTE_PGM_RSRC2:SCRATCH_EN: 0
; COMPUTE_PGM_RSRC2:USER_SGPR: 13
; COMPUTE_PGM_RSRC2:TRAP_HANDLER: 0
; COMPUTE_PGM_RSRC2:TGID_X_EN: 1
; COMPUTE_PGM_RSRC2:TGID_Y_EN: 1
; COMPUTE_PGM_RSRC2:TGID_Z_EN: 1
; COMPUTE_PGM_RSRC2:TIDIG_COMP_CNT: 1
	.section	.text._ZN2at6native30max_unpooling3d_forward_kernelIfEEvN5torch10headeronly6detail27GenericPackedTensorAccessorINS4_14TensorAccessorIN3c108ArrayRefIlEEKT_Lm3ENS3_16DefaultPtrTraitsElEENS_6detail16IndexBoundsCheckILm4ElEESB_Lm4ESC_lEENS5_INS6_IS9_KlLm3ESC_lEESG_SI_Lm4ESC_lEEPSA_llll,"axG",@progbits,_ZN2at6native30max_unpooling3d_forward_kernelIfEEvN5torch10headeronly6detail27GenericPackedTensorAccessorINS4_14TensorAccessorIN3c108ArrayRefIlEEKT_Lm3ENS3_16DefaultPtrTraitsElEENS_6detail16IndexBoundsCheckILm4ElEESB_Lm4ESC_lEENS5_INS6_IS9_KlLm3ESC_lEESG_SI_Lm4ESC_lEEPSA_llll,comdat
	.protected	_ZN2at6native30max_unpooling3d_forward_kernelIfEEvN5torch10headeronly6detail27GenericPackedTensorAccessorINS4_14TensorAccessorIN3c108ArrayRefIlEEKT_Lm3ENS3_16DefaultPtrTraitsElEENS_6detail16IndexBoundsCheckILm4ElEESB_Lm4ESC_lEENS5_INS6_IS9_KlLm3ESC_lEESG_SI_Lm4ESC_lEEPSA_llll ; -- Begin function _ZN2at6native30max_unpooling3d_forward_kernelIfEEvN5torch10headeronly6detail27GenericPackedTensorAccessorINS4_14TensorAccessorIN3c108ArrayRefIlEEKT_Lm3ENS3_16DefaultPtrTraitsElEENS_6detail16IndexBoundsCheckILm4ElEESB_Lm4ESC_lEENS5_INS6_IS9_KlLm3ESC_lEESG_SI_Lm4ESC_lEEPSA_llll
	.globl	_ZN2at6native30max_unpooling3d_forward_kernelIfEEvN5torch10headeronly6detail27GenericPackedTensorAccessorINS4_14TensorAccessorIN3c108ArrayRefIlEEKT_Lm3ENS3_16DefaultPtrTraitsElEENS_6detail16IndexBoundsCheckILm4ElEESB_Lm4ESC_lEENS5_INS6_IS9_KlLm3ESC_lEESG_SI_Lm4ESC_lEEPSA_llll
	.p2align	8
	.type	_ZN2at6native30max_unpooling3d_forward_kernelIfEEvN5torch10headeronly6detail27GenericPackedTensorAccessorINS4_14TensorAccessorIN3c108ArrayRefIlEEKT_Lm3ENS3_16DefaultPtrTraitsElEENS_6detail16IndexBoundsCheckILm4ElEESB_Lm4ESC_lEENS5_INS6_IS9_KlLm3ESC_lEESG_SI_Lm4ESC_lEEPSA_llll,@function
_ZN2at6native30max_unpooling3d_forward_kernelIfEEvN5torch10headeronly6detail27GenericPackedTensorAccessorINS4_14TensorAccessorIN3c108ArrayRefIlEEKT_Lm3ENS3_16DefaultPtrTraitsElEENS_6detail16IndexBoundsCheckILm4ElEESB_Lm4ESC_lEENS5_INS6_IS9_KlLm3ESC_lEESG_SI_Lm4ESC_lEEPSA_llll: ; @_ZN2at6native30max_unpooling3d_forward_kernelIfEEvN5torch10headeronly6detail27GenericPackedTensorAccessorINS4_14TensorAccessorIN3c108ArrayRefIlEEKT_Lm3ENS3_16DefaultPtrTraitsElEENS_6detail16IndexBoundsCheckILm4ElEESB_Lm4ESC_lEENS5_INS6_IS9_KlLm3ESC_lEESG_SI_Lm4ESC_lEEPSA_llll
; %bb.0:
	s_clause 0x1
	s_load_b64 s[2:3], s[0:1], 0xb0
	s_load_b64 s[22:23], s[0:1], 0x10
	s_waitcnt lgkmcnt(0)
	s_add_u32 s20, s15, s2
	s_addc_u32 s21, 0, s3
	s_delay_alu instid0(SALU_CYCLE_1) | instskip(SKIP_1) | instid1(SALU_CYCLE_1)
	s_or_b64 s[2:3], s[20:21], s[22:23]
	s_mov_b32 s2, 0
	s_cmp_lg_u64 s[2:3], 0
	s_cbranch_scc0 .LBB15_8
; %bb.1:
	s_ashr_i32 s4, s23, 31
	s_delay_alu instid0(SALU_CYCLE_1) | instskip(SKIP_2) | instid1(SALU_CYCLE_1)
	s_add_u32 s6, s22, s4
	s_mov_b32 s5, s4
	s_addc_u32 s7, s23, s4
	s_xor_b64 s[6:7], s[6:7], s[4:5]
	s_delay_alu instid0(SALU_CYCLE_1) | instskip(SKIP_3) | instid1(VALU_DEP_1)
	v_cvt_f32_u32_e32 v1, s6
	v_cvt_f32_u32_e32 v2, s7
	s_sub_u32 s9, 0, s6
	s_subb_u32 s10, 0, s7
	v_fmamk_f32 v1, v2, 0x4f800000, v1
	s_delay_alu instid0(VALU_DEP_1) | instskip(SKIP_2) | instid1(VALU_DEP_1)
	v_rcp_f32_e32 v1, v1
	s_waitcnt_depctr 0xfff
	v_mul_f32_e32 v1, 0x5f7ffffc, v1
	v_mul_f32_e32 v2, 0x2f800000, v1
	s_delay_alu instid0(VALU_DEP_1) | instskip(NEXT) | instid1(VALU_DEP_1)
	v_trunc_f32_e32 v2, v2
	v_fmamk_f32 v1, v2, 0xcf800000, v1
	v_cvt_u32_f32_e32 v2, v2
	s_delay_alu instid0(VALU_DEP_2) | instskip(NEXT) | instid1(VALU_DEP_2)
	v_cvt_u32_f32_e32 v1, v1
	v_readfirstlane_b32 s3, v2
	s_delay_alu instid0(VALU_DEP_2) | instskip(NEXT) | instid1(VALU_DEP_2)
	v_readfirstlane_b32 s8, v1
	s_mul_i32 s11, s9, s3
	s_delay_alu instid0(VALU_DEP_1)
	s_mul_hi_u32 s15, s9, s8
	s_mul_i32 s12, s10, s8
	s_add_i32 s11, s15, s11
	s_mul_i32 s16, s9, s8
	s_add_i32 s11, s11, s12
	s_mul_hi_u32 s15, s8, s16
	s_mul_hi_u32 s17, s3, s16
	s_mul_i32 s12, s3, s16
	s_mul_hi_u32 s16, s8, s11
	s_mul_i32 s8, s8, s11
	s_mul_hi_u32 s18, s3, s11
	s_add_u32 s8, s15, s8
	s_addc_u32 s15, 0, s16
	s_add_u32 s8, s8, s12
	s_mul_i32 s11, s3, s11
	s_addc_u32 s8, s15, s17
	s_addc_u32 s12, s18, 0
	s_add_u32 s8, s8, s11
	s_addc_u32 s11, 0, s12
	v_add_co_u32 v1, s8, v1, s8
	s_delay_alu instid0(VALU_DEP_1) | instskip(SKIP_1) | instid1(VALU_DEP_1)
	s_cmp_lg_u32 s8, 0
	s_addc_u32 s3, s3, s11
	v_readfirstlane_b32 s8, v1
	s_mul_i32 s11, s9, s3
	s_delay_alu instid0(VALU_DEP_1)
	s_mul_hi_u32 s12, s9, s8
	s_mul_i32 s10, s10, s8
	s_add_i32 s11, s12, s11
	s_mul_i32 s9, s9, s8
	s_add_i32 s11, s11, s10
	s_mul_hi_u32 s12, s3, s9
	s_mul_i32 s15, s3, s9
	s_mul_hi_u32 s9, s8, s9
	s_mul_hi_u32 s16, s8, s11
	s_mul_i32 s8, s8, s11
	s_mul_hi_u32 s10, s3, s11
	s_add_u32 s8, s9, s8
	s_addc_u32 s9, 0, s16
	s_add_u32 s8, s8, s15
	s_mul_i32 s11, s3, s11
	s_addc_u32 s8, s9, s12
	s_addc_u32 s9, s10, 0
	s_add_u32 s8, s8, s11
	s_addc_u32 s9, 0, s9
	v_add_co_u32 v1, s8, v1, s8
	s_delay_alu instid0(VALU_DEP_1) | instskip(SKIP_2) | instid1(VALU_DEP_1)
	s_cmp_lg_u32 s8, 0
	s_addc_u32 s3, s3, s9
	s_ashr_i32 s8, s21, 31
	v_readfirstlane_b32 s12, v1
	s_add_u32 s10, s20, s8
	s_mov_b32 s9, s8
	s_addc_u32 s11, s21, s8
	s_delay_alu instid0(SALU_CYCLE_1) | instskip(NEXT) | instid1(SALU_CYCLE_1)
	s_xor_b64 s[10:11], s[10:11], s[8:9]
	s_mul_i32 s16, s10, s3
	s_mul_hi_u32 s17, s10, s12
	s_mul_hi_u32 s15, s10, s3
	;; [unrolled: 1-line block ×3, first 2 shown]
	s_mul_i32 s12, s11, s12
	s_add_u32 s16, s17, s16
	s_addc_u32 s15, 0, s15
	s_mul_hi_u32 s18, s11, s3
	s_add_u32 s12, s16, s12
	s_mul_i32 s3, s11, s3
	s_addc_u32 s12, s15, s19
	s_addc_u32 s15, s18, 0
	s_add_u32 s3, s12, s3
	s_addc_u32 s12, 0, s15
	s_mul_i32 s18, s6, s3
	s_mul_hi_u32 s15, s6, s3
	s_mul_i32 s17, s6, s12
	v_sub_co_u32 v1, s10, s10, s18
	s_mul_i32 s16, s7, s3
	s_add_i32 s15, s15, s17
	s_delay_alu instid0(SALU_CYCLE_1) | instskip(NEXT) | instid1(VALU_DEP_1)
	s_add_i32 s15, s15, s16
	v_sub_co_u32 v2, s17, v1, s6
	s_sub_i32 s16, s11, s15
	s_cmp_lg_u32 s10, 0
	s_subb_u32 s16, s16, s7
	s_cmp_lg_u32 s17, 0
	v_readfirstlane_b32 s17, v2
	s_subb_u32 s16, s16, 0
	s_delay_alu instid0(SALU_CYCLE_1) | instskip(SKIP_1) | instid1(VALU_DEP_1)
	s_cmp_ge_u32 s16, s7
	s_cselect_b32 s18, -1, 0
	s_cmp_ge_u32 s17, s6
	s_cselect_b32 s17, -1, 0
	s_cmp_eq_u32 s16, s7
	s_cselect_b32 s16, s17, s18
	s_add_u32 s17, s3, 1
	s_addc_u32 s18, s12, 0
	s_add_u32 s19, s3, 2
	s_addc_u32 s24, s12, 0
	s_cmp_lg_u32 s16, 0
	s_cselect_b32 s16, s19, s17
	s_cselect_b32 s17, s24, s18
	s_cmp_lg_u32 s10, 0
	v_readfirstlane_b32 s10, v1
	s_subb_u32 s11, s11, s15
	s_delay_alu instid0(SALU_CYCLE_1) | instskip(SKIP_1) | instid1(VALU_DEP_1)
	s_cmp_ge_u32 s11, s7
	s_cselect_b32 s15, -1, 0
	s_cmp_ge_u32 s10, s6
	s_cselect_b32 s6, -1, 0
	s_cmp_eq_u32 s11, s7
	s_cselect_b32 s6, s6, s15
	s_delay_alu instid0(SALU_CYCLE_1) | instskip(SKIP_3) | instid1(SALU_CYCLE_1)
	s_cmp_lg_u32 s6, 0
	s_cselect_b32 s7, s17, s12
	s_cselect_b32 s6, s16, s3
	s_xor_b64 s[4:5], s[8:9], s[4:5]
	s_xor_b64 s[6:7], s[6:7], s[4:5]
	s_delay_alu instid0(SALU_CYCLE_1)
	s_sub_u32 s24, s6, s4
	s_subb_u32 s25, s7, s5
	s_load_b32 s3, s[0:1], 0xc4
	s_and_not1_b32 vcc_lo, exec_lo, s2
	s_cbranch_vccnz .LBB15_3
.LBB15_2:
	v_cvt_f32_u32_e32 v1, s22
	s_sub_i32 s4, 0, s22
	s_mov_b32 s25, 0
	s_delay_alu instid0(VALU_DEP_1) | instskip(SKIP_2) | instid1(VALU_DEP_1)
	v_rcp_iflag_f32_e32 v1, v1
	s_waitcnt_depctr 0xfff
	v_mul_f32_e32 v1, 0x4f7ffffe, v1
	v_cvt_u32_f32_e32 v1, v1
	s_delay_alu instid0(VALU_DEP_1) | instskip(NEXT) | instid1(VALU_DEP_1)
	v_readfirstlane_b32 s2, v1
	s_mul_i32 s4, s4, s2
	s_delay_alu instid0(SALU_CYCLE_1) | instskip(NEXT) | instid1(SALU_CYCLE_1)
	s_mul_hi_u32 s4, s2, s4
	s_add_i32 s2, s2, s4
	s_delay_alu instid0(SALU_CYCLE_1) | instskip(NEXT) | instid1(SALU_CYCLE_1)
	s_mul_hi_u32 s2, s20, s2
	s_mul_i32 s4, s2, s22
	s_add_i32 s5, s2, 1
	s_sub_i32 s4, s20, s4
	s_delay_alu instid0(SALU_CYCLE_1)
	s_sub_i32 s6, s4, s22
	s_cmp_ge_u32 s4, s22
	s_cselect_b32 s2, s5, s2
	s_cselect_b32 s4, s6, s4
	s_add_i32 s5, s2, 1
	s_cmp_ge_u32 s4, s22
	s_cselect_b32 s24, s5, s2
.LBB15_3:
	s_load_b128 s[4:7], s[0:1], 0x18
	v_bfe_u32 v2, v0, 10, 10
	v_dual_mov_b32 v5, 0 :: v_dual_and_b32 v4, 0x3ff, v0
	s_waitcnt lgkmcnt(0)
	s_lshr_b32 s2, s3, 16
	s_and_b32 s3, s3, 0xffff
	v_mad_u64_u32 v[0:1], null, s14, s2, v[2:3]
	v_mad_u64_u32 v[2:3], null, s3, s13, v[4:5]
	v_mov_b32_e32 v1, v5
	s_delay_alu instid0(VALU_DEP_1) | instskip(NEXT) | instid1(VALU_DEP_3)
	v_cmp_gt_i64_e32 vcc_lo, s[4:5], v[0:1]
	v_cmp_gt_i64_e64 s2, s[6:7], v[2:3]
	s_delay_alu instid0(VALU_DEP_1) | instskip(NEXT) | instid1(SALU_CYCLE_1)
	s_and_b32 s2, vcc_lo, s2
	s_and_saveexec_b32 s3, s2
	s_cbranch_execz .LBB15_7
; %bb.4:
	s_clause 0x1
	s_load_b256 s[4:11], s[0:1], 0x90
	s_load_b256 s[12:19], s[0:1], 0x70
	s_mul_i32 s2, s24, s23
	s_mul_hi_u32 s3, s24, s22
	s_mul_i32 s26, s25, s22
	s_mul_i32 s27, s24, s22
	s_load_b64 s[22:23], s[0:1], 0x48
	s_add_i32 s2, s3, s2
	s_delay_alu instid0(SALU_CYCLE_1)
	s_add_i32 s2, s2, s26
	s_waitcnt lgkmcnt(0)
	s_mul_i32 s3, s8, s7
	v_mad_u64_u32 v[4:5], null, s16, v0, 0
	s_mul_hi_u32 s7, s8, s6
	s_mul_i32 s9, s9, s6
	s_mul_i32 s6, s8, s6
	s_add_i32 s3, s7, s3
	s_mul_i32 s7, s6, s11
	s_mul_hi_u32 s8, s6, s10
	s_add_i32 s3, s3, s9
	v_mov_b32_e32 v1, v5
	s_add_i32 s7, s8, s7
	s_mul_i32 s3, s3, s10
	s_mul_i32 s26, s12, s25
	s_mul_hi_u32 s28, s12, s24
	s_add_i32 s7, s7, s3
	s_sub_u32 s3, s20, s27
	s_mul_i32 s13, s13, s24
	s_subb_u32 s16, s21, s2
	s_add_i32 s2, s28, s26
	v_mad_u64_u32 v[5:6], null, s17, v0, v[1:2]
	v_mul_lo_u32 v1, s19, v2
	v_mul_lo_u32 v8, s18, v3
	v_mad_u64_u32 v[6:7], null, s18, v2, 0
	s_mul_i32 s8, s12, s24
	s_add_i32 s9, s2, s13
	s_mul_hi_u32 s2, s14, s3
	s_lshl_b64 s[8:9], s[8:9], 3
	s_mul_i32 s11, s14, s16
	s_add_u32 s12, s22, s8
	s_addc_u32 s13, s23, s9
	s_add_i32 s2, s2, s11
	s_mul_i32 s8, s15, s3
	v_add3_u32 v7, v7, v8, v1
	s_add_i32 s9, s2, s8
	s_mul_i32 s8, s14, s3
	v_lshlrev_b64 v[4:5], 3, v[4:5]
	s_lshl_b64 s[8:9], s[8:9], 3
	v_lshlrev_b64 v[6:7], 3, v[6:7]
	s_add_u32 s2, s12, s8
	s_addc_u32 s8, s13, s9
	s_mul_i32 s6, s6, s10
	v_add_co_u32 v1, vcc_lo, s2, v4
	v_add_co_ci_u32_e32 v5, vcc_lo, s8, v5, vcc_lo
	s_delay_alu instid0(VALU_DEP_2) | instskip(NEXT) | instid1(VALU_DEP_2)
	v_add_co_u32 v4, vcc_lo, v1, v6
	v_add_co_ci_u32_e32 v5, vcc_lo, v5, v7, vcc_lo
	global_load_b64 v[4:5], v[4:5], off
	s_waitcnt vmcnt(0)
	v_cmp_lt_i64_e32 vcc_lo, -1, v[4:5]
	v_cmp_gt_i64_e64 s2, s[6:7], v[4:5]
	s_delay_alu instid0(VALU_DEP_1) | instskip(NEXT) | instid1(SALU_CYCLE_1)
	s_and_b32 s2, vcc_lo, s2
	s_and_saveexec_b32 s8, s2
	s_delay_alu instid0(SALU_CYCLE_1)
	s_xor_b32 s2, exec_lo, s8
	s_cbranch_execz .LBB15_6
; %bb.5:
	s_clause 0x1
	s_load_b256 s[8:15], s[0:1], 0x28
	s_load_b64 s[0:1], s[0:1], 0x0
	s_waitcnt lgkmcnt(0)
	v_mad_u64_u32 v[6:7], null, s12, v0, 0
	v_mul_lo_u32 v10, s15, v2
	v_mul_lo_u32 v11, s14, v3
	v_mad_u64_u32 v[8:9], null, s14, v2, 0
	s_mul_i32 s12, s8, s25
	s_mul_hi_u32 s17, s8, s24
	s_delay_alu instid0(VALU_DEP_4)
	v_mov_b32_e32 v1, v7
	s_mul_i32 s9, s9, s24
	s_add_i32 s12, s17, s12
	s_mul_i32 s8, s8, s24
	s_add_i32 s9, s12, s9
	v_mad_u64_u32 v[2:3], null, s13, v0, v[1:2]
	s_lshl_b64 s[8:9], s[8:9], 2
	s_mul_i32 s13, s10, s16
	s_mul_hi_u32 s12, s10, s3
	s_add_u32 s8, s0, s8
	s_mul_i32 s11, s11, s3
	s_addc_u32 s9, s1, s9
	s_delay_alu instid0(VALU_DEP_1)
	v_mov_b32_e32 v7, v2
	s_add_i32 s1, s12, s13
	v_add3_u32 v9, v9, v11, v10
	s_mul_i32 s0, s10, s3
	s_add_i32 s1, s1, s11
	v_lshlrev_b64 v[0:1], 2, v[6:7]
	s_lshl_b64 s[0:1], s[0:1], 2
	v_lshlrev_b64 v[2:3], 2, v[8:9]
	s_add_u32 s0, s8, s0
	s_addc_u32 s1, s9, s1
	s_delay_alu instid0(VALU_DEP_2) | instskip(SKIP_2) | instid1(VALU_DEP_2)
	v_add_co_u32 v0, vcc_lo, s0, v0
	v_add_co_ci_u32_e32 v1, vcc_lo, s1, v1, vcc_lo
	s_mul_i32 s0, s6, s25
	v_add_co_u32 v0, vcc_lo, v0, v2
	s_delay_alu instid0(VALU_DEP_2) | instskip(SKIP_1) | instid1(SALU_CYCLE_1)
	v_add_co_ci_u32_e32 v1, vcc_lo, v1, v3, vcc_lo
	s_mul_hi_u32 s1, s6, s24
	s_add_i32 s0, s1, s0
	global_load_b32 v2, v[0:1], off
	s_mul_i32 s1, s7, s24
	v_lshlrev_b64 v[0:1], 2, v[4:5]
	s_add_i32 s1, s0, s1
	s_mul_i32 s0, s6, s24
	s_delay_alu instid0(SALU_CYCLE_1) | instskip(NEXT) | instid1(SALU_CYCLE_1)
	s_lshl_b64 s[0:1], s[0:1], 2
	s_add_u32 s0, s4, s0
	s_addc_u32 s1, s5, s1
	v_add_co_u32 v0, vcc_lo, s0, v0
	v_add_co_ci_u32_e32 v1, vcc_lo, s1, v1, vcc_lo
	s_waitcnt vmcnt(0)
	global_store_b32 v[0:1], v2, off
.LBB15_6:
	s_and_not1_saveexec_b32 s0, s2
	s_cbranch_execnz .LBB15_9
.LBB15_7:
	s_nop 0
	s_sendmsg sendmsg(MSG_DEALLOC_VGPRS)
	s_endpgm
.LBB15_8:
                                        ; implicit-def: $sgpr24_sgpr25
	s_load_b32 s3, s[0:1], 0xc4
	s_branch .LBB15_2
.LBB15_9:
	s_cbranch_execnz .LBB15_11
; %bb.10:
	; divergent unreachable
	s_nop 0
	s_sendmsg sendmsg(MSG_DEALLOC_VGPRS)
	s_endpgm
.LBB15_11:
	s_trap 2
	s_sendmsg_rtn_b32 s0, sendmsg(MSG_RTN_GET_DOORBELL)
	s_mov_b32 ttmp2, m0
	s_waitcnt lgkmcnt(0)
	s_and_b32 s0, s0, 0x3ff
	s_delay_alu instid0(SALU_CYCLE_1) | instskip(NEXT) | instid1(SALU_CYCLE_1)
	s_bitset1_b32 s0, 10
	s_mov_b32 m0, s0
	s_sendmsg sendmsg(MSG_INTERRUPT)
	s_mov_b32 m0, ttmp2
.LBB15_12:                              ; =>This Inner Loop Header: Depth=1
	s_sethalt 5
	s_branch .LBB15_12
	.section	.rodata,"a",@progbits
	.p2align	6, 0x0
	.amdhsa_kernel _ZN2at6native30max_unpooling3d_forward_kernelIfEEvN5torch10headeronly6detail27GenericPackedTensorAccessorINS4_14TensorAccessorIN3c108ArrayRefIlEEKT_Lm3ENS3_16DefaultPtrTraitsElEENS_6detail16IndexBoundsCheckILm4ElEESB_Lm4ESC_lEENS5_INS6_IS9_KlLm3ESC_lEESG_SI_Lm4ESC_lEEPSA_llll
		.amdhsa_group_segment_fixed_size 0
		.amdhsa_private_segment_fixed_size 0
		.amdhsa_kernarg_size 440
		.amdhsa_user_sgpr_count 13
		.amdhsa_user_sgpr_dispatch_ptr 0
		.amdhsa_user_sgpr_queue_ptr 0
		.amdhsa_user_sgpr_kernarg_segment_ptr 1
		.amdhsa_user_sgpr_dispatch_id 0
		.amdhsa_user_sgpr_private_segment_size 0
		.amdhsa_wavefront_size32 1
		.amdhsa_uses_dynamic_stack 0
		.amdhsa_enable_private_segment 0
		.amdhsa_system_sgpr_workgroup_id_x 1
		.amdhsa_system_sgpr_workgroup_id_y 1
		.amdhsa_system_sgpr_workgroup_id_z 1
		.amdhsa_system_sgpr_workgroup_info 0
		.amdhsa_system_vgpr_workitem_id 1
		.amdhsa_next_free_vgpr 12
		.amdhsa_next_free_sgpr 29
		.amdhsa_reserve_vcc 1
		.amdhsa_float_round_mode_32 0
		.amdhsa_float_round_mode_16_64 0
		.amdhsa_float_denorm_mode_32 3
		.amdhsa_float_denorm_mode_16_64 3
		.amdhsa_dx10_clamp 1
		.amdhsa_ieee_mode 1
		.amdhsa_fp16_overflow 0
		.amdhsa_workgroup_processor_mode 1
		.amdhsa_memory_ordered 1
		.amdhsa_forward_progress 0
		.amdhsa_shared_vgpr_count 0
		.amdhsa_exception_fp_ieee_invalid_op 0
		.amdhsa_exception_fp_denorm_src 0
		.amdhsa_exception_fp_ieee_div_zero 0
		.amdhsa_exception_fp_ieee_overflow 0
		.amdhsa_exception_fp_ieee_underflow 0
		.amdhsa_exception_fp_ieee_inexact 0
		.amdhsa_exception_int_div_zero 0
	.end_amdhsa_kernel
	.section	.text._ZN2at6native30max_unpooling3d_forward_kernelIfEEvN5torch10headeronly6detail27GenericPackedTensorAccessorINS4_14TensorAccessorIN3c108ArrayRefIlEEKT_Lm3ENS3_16DefaultPtrTraitsElEENS_6detail16IndexBoundsCheckILm4ElEESB_Lm4ESC_lEENS5_INS6_IS9_KlLm3ESC_lEESG_SI_Lm4ESC_lEEPSA_llll,"axG",@progbits,_ZN2at6native30max_unpooling3d_forward_kernelIfEEvN5torch10headeronly6detail27GenericPackedTensorAccessorINS4_14TensorAccessorIN3c108ArrayRefIlEEKT_Lm3ENS3_16DefaultPtrTraitsElEENS_6detail16IndexBoundsCheckILm4ElEESB_Lm4ESC_lEENS5_INS6_IS9_KlLm3ESC_lEESG_SI_Lm4ESC_lEEPSA_llll,comdat
.Lfunc_end15:
	.size	_ZN2at6native30max_unpooling3d_forward_kernelIfEEvN5torch10headeronly6detail27GenericPackedTensorAccessorINS4_14TensorAccessorIN3c108ArrayRefIlEEKT_Lm3ENS3_16DefaultPtrTraitsElEENS_6detail16IndexBoundsCheckILm4ElEESB_Lm4ESC_lEENS5_INS6_IS9_KlLm3ESC_lEESG_SI_Lm4ESC_lEEPSA_llll, .Lfunc_end15-_ZN2at6native30max_unpooling3d_forward_kernelIfEEvN5torch10headeronly6detail27GenericPackedTensorAccessorINS4_14TensorAccessorIN3c108ArrayRefIlEEKT_Lm3ENS3_16DefaultPtrTraitsElEENS_6detail16IndexBoundsCheckILm4ElEESB_Lm4ESC_lEENS5_INS6_IS9_KlLm3ESC_lEESG_SI_Lm4ESC_lEEPSA_llll
                                        ; -- End function
	.section	.AMDGPU.csdata,"",@progbits
; Kernel info:
; codeLenInByte = 1612
; NumSgprs: 31
; NumVgprs: 12
; ScratchSize: 0
; MemoryBound: 0
; FloatMode: 240
; IeeeMode: 1
; LDSByteSize: 0 bytes/workgroup (compile time only)
; SGPRBlocks: 3
; VGPRBlocks: 1
; NumSGPRsForWavesPerEU: 31
; NumVGPRsForWavesPerEU: 12
; Occupancy: 16
; WaveLimiterHint : 1
; COMPUTE_PGM_RSRC2:SCRATCH_EN: 0
; COMPUTE_PGM_RSRC2:USER_SGPR: 13
; COMPUTE_PGM_RSRC2:TRAP_HANDLER: 0
; COMPUTE_PGM_RSRC2:TGID_X_EN: 1
; COMPUTE_PGM_RSRC2:TGID_Y_EN: 1
; COMPUTE_PGM_RSRC2:TGID_Z_EN: 1
; COMPUTE_PGM_RSRC2:TIDIG_COMP_CNT: 1
	.section	.text._ZN2at6native30max_unpooling3d_forward_kernelIN3c104HalfEEEvN5torch10headeronly6detail27GenericPackedTensorAccessorINS6_14TensorAccessorINS2_8ArrayRefIlEEKT_Lm3ENS5_16DefaultPtrTraitsElEENS_6detail16IndexBoundsCheckILm4ElEESC_Lm4ESD_lEENS7_INS8_ISA_KlLm3ESD_lEESH_SJ_Lm4ESD_lEEPSB_llll,"axG",@progbits,_ZN2at6native30max_unpooling3d_forward_kernelIN3c104HalfEEEvN5torch10headeronly6detail27GenericPackedTensorAccessorINS6_14TensorAccessorINS2_8ArrayRefIlEEKT_Lm3ENS5_16DefaultPtrTraitsElEENS_6detail16IndexBoundsCheckILm4ElEESC_Lm4ESD_lEENS7_INS8_ISA_KlLm3ESD_lEESH_SJ_Lm4ESD_lEEPSB_llll,comdat
	.protected	_ZN2at6native30max_unpooling3d_forward_kernelIN3c104HalfEEEvN5torch10headeronly6detail27GenericPackedTensorAccessorINS6_14TensorAccessorINS2_8ArrayRefIlEEKT_Lm3ENS5_16DefaultPtrTraitsElEENS_6detail16IndexBoundsCheckILm4ElEESC_Lm4ESD_lEENS7_INS8_ISA_KlLm3ESD_lEESH_SJ_Lm4ESD_lEEPSB_llll ; -- Begin function _ZN2at6native30max_unpooling3d_forward_kernelIN3c104HalfEEEvN5torch10headeronly6detail27GenericPackedTensorAccessorINS6_14TensorAccessorINS2_8ArrayRefIlEEKT_Lm3ENS5_16DefaultPtrTraitsElEENS_6detail16IndexBoundsCheckILm4ElEESC_Lm4ESD_lEENS7_INS8_ISA_KlLm3ESD_lEESH_SJ_Lm4ESD_lEEPSB_llll
	.globl	_ZN2at6native30max_unpooling3d_forward_kernelIN3c104HalfEEEvN5torch10headeronly6detail27GenericPackedTensorAccessorINS6_14TensorAccessorINS2_8ArrayRefIlEEKT_Lm3ENS5_16DefaultPtrTraitsElEENS_6detail16IndexBoundsCheckILm4ElEESC_Lm4ESD_lEENS7_INS8_ISA_KlLm3ESD_lEESH_SJ_Lm4ESD_lEEPSB_llll
	.p2align	8
	.type	_ZN2at6native30max_unpooling3d_forward_kernelIN3c104HalfEEEvN5torch10headeronly6detail27GenericPackedTensorAccessorINS6_14TensorAccessorINS2_8ArrayRefIlEEKT_Lm3ENS5_16DefaultPtrTraitsElEENS_6detail16IndexBoundsCheckILm4ElEESC_Lm4ESD_lEENS7_INS8_ISA_KlLm3ESD_lEESH_SJ_Lm4ESD_lEEPSB_llll,@function
_ZN2at6native30max_unpooling3d_forward_kernelIN3c104HalfEEEvN5torch10headeronly6detail27GenericPackedTensorAccessorINS6_14TensorAccessorINS2_8ArrayRefIlEEKT_Lm3ENS5_16DefaultPtrTraitsElEENS_6detail16IndexBoundsCheckILm4ElEESC_Lm4ESD_lEENS7_INS8_ISA_KlLm3ESD_lEESH_SJ_Lm4ESD_lEEPSB_llll: ; @_ZN2at6native30max_unpooling3d_forward_kernelIN3c104HalfEEEvN5torch10headeronly6detail27GenericPackedTensorAccessorINS6_14TensorAccessorINS2_8ArrayRefIlEEKT_Lm3ENS5_16DefaultPtrTraitsElEENS_6detail16IndexBoundsCheckILm4ElEESC_Lm4ESD_lEENS7_INS8_ISA_KlLm3ESD_lEESH_SJ_Lm4ESD_lEEPSB_llll
; %bb.0:
	s_clause 0x1
	s_load_b64 s[2:3], s[0:1], 0xb0
	s_load_b64 s[22:23], s[0:1], 0x10
	s_waitcnt lgkmcnt(0)
	s_add_u32 s20, s15, s2
	s_addc_u32 s21, 0, s3
	s_delay_alu instid0(SALU_CYCLE_1) | instskip(SKIP_1) | instid1(SALU_CYCLE_1)
	s_or_b64 s[2:3], s[20:21], s[22:23]
	s_mov_b32 s2, 0
	s_cmp_lg_u64 s[2:3], 0
	s_cbranch_scc0 .LBB16_8
; %bb.1:
	s_ashr_i32 s4, s23, 31
	s_delay_alu instid0(SALU_CYCLE_1) | instskip(SKIP_2) | instid1(SALU_CYCLE_1)
	s_add_u32 s6, s22, s4
	s_mov_b32 s5, s4
	s_addc_u32 s7, s23, s4
	s_xor_b64 s[6:7], s[6:7], s[4:5]
	s_delay_alu instid0(SALU_CYCLE_1) | instskip(SKIP_3) | instid1(VALU_DEP_1)
	v_cvt_f32_u32_e32 v1, s6
	v_cvt_f32_u32_e32 v2, s7
	s_sub_u32 s9, 0, s6
	s_subb_u32 s10, 0, s7
	v_fmamk_f32 v1, v2, 0x4f800000, v1
	s_delay_alu instid0(VALU_DEP_1) | instskip(SKIP_2) | instid1(VALU_DEP_1)
	v_rcp_f32_e32 v1, v1
	s_waitcnt_depctr 0xfff
	v_mul_f32_e32 v1, 0x5f7ffffc, v1
	v_mul_f32_e32 v2, 0x2f800000, v1
	s_delay_alu instid0(VALU_DEP_1) | instskip(NEXT) | instid1(VALU_DEP_1)
	v_trunc_f32_e32 v2, v2
	v_fmamk_f32 v1, v2, 0xcf800000, v1
	v_cvt_u32_f32_e32 v2, v2
	s_delay_alu instid0(VALU_DEP_2) | instskip(NEXT) | instid1(VALU_DEP_2)
	v_cvt_u32_f32_e32 v1, v1
	v_readfirstlane_b32 s3, v2
	s_delay_alu instid0(VALU_DEP_2) | instskip(NEXT) | instid1(VALU_DEP_2)
	v_readfirstlane_b32 s8, v1
	s_mul_i32 s11, s9, s3
	s_delay_alu instid0(VALU_DEP_1)
	s_mul_hi_u32 s15, s9, s8
	s_mul_i32 s12, s10, s8
	s_add_i32 s11, s15, s11
	s_mul_i32 s16, s9, s8
	s_add_i32 s11, s11, s12
	s_mul_hi_u32 s15, s8, s16
	s_mul_hi_u32 s17, s3, s16
	s_mul_i32 s12, s3, s16
	s_mul_hi_u32 s16, s8, s11
	s_mul_i32 s8, s8, s11
	s_mul_hi_u32 s18, s3, s11
	s_add_u32 s8, s15, s8
	s_addc_u32 s15, 0, s16
	s_add_u32 s8, s8, s12
	s_mul_i32 s11, s3, s11
	s_addc_u32 s8, s15, s17
	s_addc_u32 s12, s18, 0
	s_add_u32 s8, s8, s11
	s_addc_u32 s11, 0, s12
	v_add_co_u32 v1, s8, v1, s8
	s_delay_alu instid0(VALU_DEP_1) | instskip(SKIP_1) | instid1(VALU_DEP_1)
	s_cmp_lg_u32 s8, 0
	s_addc_u32 s3, s3, s11
	v_readfirstlane_b32 s8, v1
	s_mul_i32 s11, s9, s3
	s_delay_alu instid0(VALU_DEP_1)
	s_mul_hi_u32 s12, s9, s8
	s_mul_i32 s10, s10, s8
	s_add_i32 s11, s12, s11
	s_mul_i32 s9, s9, s8
	s_add_i32 s11, s11, s10
	s_mul_hi_u32 s12, s3, s9
	s_mul_i32 s15, s3, s9
	s_mul_hi_u32 s9, s8, s9
	s_mul_hi_u32 s16, s8, s11
	s_mul_i32 s8, s8, s11
	s_mul_hi_u32 s10, s3, s11
	s_add_u32 s8, s9, s8
	s_addc_u32 s9, 0, s16
	s_add_u32 s8, s8, s15
	s_mul_i32 s11, s3, s11
	s_addc_u32 s8, s9, s12
	s_addc_u32 s9, s10, 0
	s_add_u32 s8, s8, s11
	s_addc_u32 s9, 0, s9
	v_add_co_u32 v1, s8, v1, s8
	s_delay_alu instid0(VALU_DEP_1) | instskip(SKIP_2) | instid1(VALU_DEP_1)
	s_cmp_lg_u32 s8, 0
	s_addc_u32 s3, s3, s9
	s_ashr_i32 s8, s21, 31
	v_readfirstlane_b32 s12, v1
	s_add_u32 s10, s20, s8
	s_mov_b32 s9, s8
	s_addc_u32 s11, s21, s8
	s_delay_alu instid0(SALU_CYCLE_1) | instskip(NEXT) | instid1(SALU_CYCLE_1)
	s_xor_b64 s[10:11], s[10:11], s[8:9]
	s_mul_i32 s16, s10, s3
	s_mul_hi_u32 s17, s10, s12
	s_mul_hi_u32 s15, s10, s3
	;; [unrolled: 1-line block ×3, first 2 shown]
	s_mul_i32 s12, s11, s12
	s_add_u32 s16, s17, s16
	s_addc_u32 s15, 0, s15
	s_mul_hi_u32 s18, s11, s3
	s_add_u32 s12, s16, s12
	s_mul_i32 s3, s11, s3
	s_addc_u32 s12, s15, s19
	s_addc_u32 s15, s18, 0
	s_add_u32 s3, s12, s3
	s_addc_u32 s12, 0, s15
	s_mul_i32 s18, s6, s3
	s_mul_hi_u32 s15, s6, s3
	s_mul_i32 s17, s6, s12
	v_sub_co_u32 v1, s10, s10, s18
	s_mul_i32 s16, s7, s3
	s_add_i32 s15, s15, s17
	s_delay_alu instid0(SALU_CYCLE_1) | instskip(NEXT) | instid1(VALU_DEP_1)
	s_add_i32 s15, s15, s16
	v_sub_co_u32 v2, s17, v1, s6
	s_sub_i32 s16, s11, s15
	s_cmp_lg_u32 s10, 0
	s_subb_u32 s16, s16, s7
	s_cmp_lg_u32 s17, 0
	v_readfirstlane_b32 s17, v2
	s_subb_u32 s16, s16, 0
	s_delay_alu instid0(SALU_CYCLE_1) | instskip(SKIP_1) | instid1(VALU_DEP_1)
	s_cmp_ge_u32 s16, s7
	s_cselect_b32 s18, -1, 0
	s_cmp_ge_u32 s17, s6
	s_cselect_b32 s17, -1, 0
	s_cmp_eq_u32 s16, s7
	s_cselect_b32 s16, s17, s18
	s_add_u32 s17, s3, 1
	s_addc_u32 s18, s12, 0
	s_add_u32 s19, s3, 2
	s_addc_u32 s24, s12, 0
	s_cmp_lg_u32 s16, 0
	s_cselect_b32 s16, s19, s17
	s_cselect_b32 s17, s24, s18
	s_cmp_lg_u32 s10, 0
	v_readfirstlane_b32 s10, v1
	s_subb_u32 s11, s11, s15
	s_delay_alu instid0(SALU_CYCLE_1) | instskip(SKIP_1) | instid1(VALU_DEP_1)
	s_cmp_ge_u32 s11, s7
	s_cselect_b32 s15, -1, 0
	s_cmp_ge_u32 s10, s6
	s_cselect_b32 s6, -1, 0
	s_cmp_eq_u32 s11, s7
	s_cselect_b32 s6, s6, s15
	s_delay_alu instid0(SALU_CYCLE_1) | instskip(SKIP_3) | instid1(SALU_CYCLE_1)
	s_cmp_lg_u32 s6, 0
	s_cselect_b32 s7, s17, s12
	s_cselect_b32 s6, s16, s3
	s_xor_b64 s[4:5], s[8:9], s[4:5]
	s_xor_b64 s[6:7], s[6:7], s[4:5]
	s_delay_alu instid0(SALU_CYCLE_1)
	s_sub_u32 s24, s6, s4
	s_subb_u32 s25, s7, s5
	s_load_b32 s3, s[0:1], 0xc4
	s_and_not1_b32 vcc_lo, exec_lo, s2
	s_cbranch_vccnz .LBB16_3
.LBB16_2:
	v_cvt_f32_u32_e32 v1, s22
	s_sub_i32 s4, 0, s22
	s_mov_b32 s25, 0
	s_delay_alu instid0(VALU_DEP_1) | instskip(SKIP_2) | instid1(VALU_DEP_1)
	v_rcp_iflag_f32_e32 v1, v1
	s_waitcnt_depctr 0xfff
	v_mul_f32_e32 v1, 0x4f7ffffe, v1
	v_cvt_u32_f32_e32 v1, v1
	s_delay_alu instid0(VALU_DEP_1) | instskip(NEXT) | instid1(VALU_DEP_1)
	v_readfirstlane_b32 s2, v1
	s_mul_i32 s4, s4, s2
	s_delay_alu instid0(SALU_CYCLE_1) | instskip(NEXT) | instid1(SALU_CYCLE_1)
	s_mul_hi_u32 s4, s2, s4
	s_add_i32 s2, s2, s4
	s_delay_alu instid0(SALU_CYCLE_1) | instskip(NEXT) | instid1(SALU_CYCLE_1)
	s_mul_hi_u32 s2, s20, s2
	s_mul_i32 s4, s2, s22
	s_add_i32 s5, s2, 1
	s_sub_i32 s4, s20, s4
	s_delay_alu instid0(SALU_CYCLE_1)
	s_sub_i32 s6, s4, s22
	s_cmp_ge_u32 s4, s22
	s_cselect_b32 s2, s5, s2
	s_cselect_b32 s4, s6, s4
	s_add_i32 s5, s2, 1
	s_cmp_ge_u32 s4, s22
	s_cselect_b32 s24, s5, s2
.LBB16_3:
	s_load_b128 s[4:7], s[0:1], 0x18
	v_bfe_u32 v2, v0, 10, 10
	v_dual_mov_b32 v5, 0 :: v_dual_and_b32 v4, 0x3ff, v0
	s_waitcnt lgkmcnt(0)
	s_lshr_b32 s2, s3, 16
	s_and_b32 s3, s3, 0xffff
	v_mad_u64_u32 v[0:1], null, s14, s2, v[2:3]
	v_mad_u64_u32 v[2:3], null, s3, s13, v[4:5]
	v_mov_b32_e32 v1, v5
	s_delay_alu instid0(VALU_DEP_1) | instskip(NEXT) | instid1(VALU_DEP_3)
	v_cmp_gt_i64_e32 vcc_lo, s[4:5], v[0:1]
	v_cmp_gt_i64_e64 s2, s[6:7], v[2:3]
	s_delay_alu instid0(VALU_DEP_1) | instskip(NEXT) | instid1(SALU_CYCLE_1)
	s_and_b32 s2, vcc_lo, s2
	s_and_saveexec_b32 s3, s2
	s_cbranch_execz .LBB16_7
; %bb.4:
	s_clause 0x1
	s_load_b256 s[4:11], s[0:1], 0x90
	s_load_b256 s[12:19], s[0:1], 0x70
	s_mul_i32 s2, s24, s23
	s_mul_hi_u32 s3, s24, s22
	s_mul_i32 s26, s25, s22
	s_mul_i32 s27, s24, s22
	s_load_b64 s[22:23], s[0:1], 0x48
	s_add_i32 s2, s3, s2
	s_delay_alu instid0(SALU_CYCLE_1)
	s_add_i32 s2, s2, s26
	s_waitcnt lgkmcnt(0)
	s_mul_i32 s3, s8, s7
	v_mad_u64_u32 v[4:5], null, s16, v0, 0
	s_mul_hi_u32 s7, s8, s6
	s_mul_i32 s9, s9, s6
	s_mul_i32 s6, s8, s6
	s_add_i32 s3, s7, s3
	s_mul_i32 s7, s6, s11
	s_mul_hi_u32 s8, s6, s10
	s_add_i32 s3, s3, s9
	v_mov_b32_e32 v1, v5
	s_add_i32 s7, s8, s7
	s_mul_i32 s3, s3, s10
	s_mul_i32 s26, s12, s25
	s_mul_hi_u32 s28, s12, s24
	s_add_i32 s7, s7, s3
	s_sub_u32 s3, s20, s27
	s_mul_i32 s13, s13, s24
	s_subb_u32 s16, s21, s2
	s_add_i32 s2, s28, s26
	v_mad_u64_u32 v[5:6], null, s17, v0, v[1:2]
	v_mul_lo_u32 v1, s19, v2
	v_mul_lo_u32 v8, s18, v3
	v_mad_u64_u32 v[6:7], null, s18, v2, 0
	s_mul_i32 s8, s12, s24
	s_add_i32 s9, s2, s13
	s_mul_hi_u32 s2, s14, s3
	s_lshl_b64 s[8:9], s[8:9], 3
	s_mul_i32 s11, s14, s16
	s_add_u32 s12, s22, s8
	s_addc_u32 s13, s23, s9
	s_add_i32 s2, s2, s11
	s_mul_i32 s8, s15, s3
	v_add3_u32 v7, v7, v8, v1
	s_add_i32 s9, s2, s8
	s_mul_i32 s8, s14, s3
	v_lshlrev_b64 v[4:5], 3, v[4:5]
	s_lshl_b64 s[8:9], s[8:9], 3
	v_lshlrev_b64 v[6:7], 3, v[6:7]
	s_add_u32 s2, s12, s8
	s_addc_u32 s8, s13, s9
	s_mul_i32 s6, s6, s10
	v_add_co_u32 v1, vcc_lo, s2, v4
	v_add_co_ci_u32_e32 v5, vcc_lo, s8, v5, vcc_lo
	s_delay_alu instid0(VALU_DEP_2) | instskip(NEXT) | instid1(VALU_DEP_2)
	v_add_co_u32 v4, vcc_lo, v1, v6
	v_add_co_ci_u32_e32 v5, vcc_lo, v5, v7, vcc_lo
	global_load_b64 v[4:5], v[4:5], off
	s_waitcnt vmcnt(0)
	v_cmp_lt_i64_e32 vcc_lo, -1, v[4:5]
	v_cmp_gt_i64_e64 s2, s[6:7], v[4:5]
	s_delay_alu instid0(VALU_DEP_1) | instskip(NEXT) | instid1(SALU_CYCLE_1)
	s_and_b32 s2, vcc_lo, s2
	s_and_saveexec_b32 s8, s2
	s_delay_alu instid0(SALU_CYCLE_1)
	s_xor_b32 s2, exec_lo, s8
	s_cbranch_execz .LBB16_6
; %bb.5:
	s_clause 0x1
	s_load_b256 s[8:15], s[0:1], 0x28
	s_load_b64 s[0:1], s[0:1], 0x0
	s_waitcnt lgkmcnt(0)
	v_mad_u64_u32 v[6:7], null, s12, v0, 0
	v_mul_lo_u32 v10, s15, v2
	v_mul_lo_u32 v11, s14, v3
	v_mad_u64_u32 v[8:9], null, s14, v2, 0
	s_mul_i32 s12, s8, s25
	s_mul_hi_u32 s17, s8, s24
	s_delay_alu instid0(VALU_DEP_4)
	v_mov_b32_e32 v1, v7
	s_mul_i32 s9, s9, s24
	s_add_i32 s12, s17, s12
	s_mul_i32 s8, s8, s24
	s_add_i32 s9, s12, s9
	v_mad_u64_u32 v[2:3], null, s13, v0, v[1:2]
	s_lshl_b64 s[8:9], s[8:9], 1
	s_mul_i32 s13, s10, s16
	s_mul_hi_u32 s12, s10, s3
	s_add_u32 s8, s0, s8
	s_mul_i32 s11, s11, s3
	s_addc_u32 s9, s1, s9
	s_delay_alu instid0(VALU_DEP_1)
	v_mov_b32_e32 v7, v2
	s_add_i32 s1, s12, s13
	v_add3_u32 v9, v9, v11, v10
	s_mul_i32 s0, s10, s3
	s_add_i32 s1, s1, s11
	v_lshlrev_b64 v[0:1], 1, v[6:7]
	s_lshl_b64 s[0:1], s[0:1], 1
	v_lshlrev_b64 v[2:3], 1, v[8:9]
	s_add_u32 s0, s8, s0
	s_addc_u32 s1, s9, s1
	s_delay_alu instid0(VALU_DEP_2) | instskip(SKIP_2) | instid1(VALU_DEP_2)
	v_add_co_u32 v0, vcc_lo, s0, v0
	v_add_co_ci_u32_e32 v1, vcc_lo, s1, v1, vcc_lo
	s_mul_i32 s0, s6, s25
	v_add_co_u32 v0, vcc_lo, v0, v2
	s_delay_alu instid0(VALU_DEP_2) | instskip(SKIP_1) | instid1(SALU_CYCLE_1)
	v_add_co_ci_u32_e32 v1, vcc_lo, v1, v3, vcc_lo
	s_mul_hi_u32 s1, s6, s24
	s_add_i32 s0, s1, s0
	global_load_u16 v2, v[0:1], off
	s_mul_i32 s1, s7, s24
	v_lshlrev_b64 v[0:1], 1, v[4:5]
	s_add_i32 s1, s0, s1
	s_mul_i32 s0, s6, s24
	s_delay_alu instid0(SALU_CYCLE_1) | instskip(NEXT) | instid1(SALU_CYCLE_1)
	s_lshl_b64 s[0:1], s[0:1], 1
	s_add_u32 s0, s4, s0
	s_addc_u32 s1, s5, s1
	v_add_co_u32 v0, vcc_lo, s0, v0
	v_add_co_ci_u32_e32 v1, vcc_lo, s1, v1, vcc_lo
	s_waitcnt vmcnt(0)
	global_store_b16 v[0:1], v2, off
.LBB16_6:
	s_and_not1_saveexec_b32 s0, s2
	s_cbranch_execnz .LBB16_9
.LBB16_7:
	s_nop 0
	s_sendmsg sendmsg(MSG_DEALLOC_VGPRS)
	s_endpgm
.LBB16_8:
                                        ; implicit-def: $sgpr24_sgpr25
	s_load_b32 s3, s[0:1], 0xc4
	s_branch .LBB16_2
.LBB16_9:
	s_cbranch_execnz .LBB16_11
; %bb.10:
	; divergent unreachable
	s_nop 0
	s_sendmsg sendmsg(MSG_DEALLOC_VGPRS)
	s_endpgm
.LBB16_11:
	s_trap 2
	s_sendmsg_rtn_b32 s0, sendmsg(MSG_RTN_GET_DOORBELL)
	s_mov_b32 ttmp2, m0
	s_waitcnt lgkmcnt(0)
	s_and_b32 s0, s0, 0x3ff
	s_delay_alu instid0(SALU_CYCLE_1) | instskip(NEXT) | instid1(SALU_CYCLE_1)
	s_bitset1_b32 s0, 10
	s_mov_b32 m0, s0
	s_sendmsg sendmsg(MSG_INTERRUPT)
	s_mov_b32 m0, ttmp2
.LBB16_12:                              ; =>This Inner Loop Header: Depth=1
	s_sethalt 5
	s_branch .LBB16_12
	.section	.rodata,"a",@progbits
	.p2align	6, 0x0
	.amdhsa_kernel _ZN2at6native30max_unpooling3d_forward_kernelIN3c104HalfEEEvN5torch10headeronly6detail27GenericPackedTensorAccessorINS6_14TensorAccessorINS2_8ArrayRefIlEEKT_Lm3ENS5_16DefaultPtrTraitsElEENS_6detail16IndexBoundsCheckILm4ElEESC_Lm4ESD_lEENS7_INS8_ISA_KlLm3ESD_lEESH_SJ_Lm4ESD_lEEPSB_llll
		.amdhsa_group_segment_fixed_size 0
		.amdhsa_private_segment_fixed_size 0
		.amdhsa_kernarg_size 440
		.amdhsa_user_sgpr_count 13
		.amdhsa_user_sgpr_dispatch_ptr 0
		.amdhsa_user_sgpr_queue_ptr 0
		.amdhsa_user_sgpr_kernarg_segment_ptr 1
		.amdhsa_user_sgpr_dispatch_id 0
		.amdhsa_user_sgpr_private_segment_size 0
		.amdhsa_wavefront_size32 1
		.amdhsa_uses_dynamic_stack 0
		.amdhsa_enable_private_segment 0
		.amdhsa_system_sgpr_workgroup_id_x 1
		.amdhsa_system_sgpr_workgroup_id_y 1
		.amdhsa_system_sgpr_workgroup_id_z 1
		.amdhsa_system_sgpr_workgroup_info 0
		.amdhsa_system_vgpr_workitem_id 1
		.amdhsa_next_free_vgpr 12
		.amdhsa_next_free_sgpr 29
		.amdhsa_reserve_vcc 1
		.amdhsa_float_round_mode_32 0
		.amdhsa_float_round_mode_16_64 0
		.amdhsa_float_denorm_mode_32 3
		.amdhsa_float_denorm_mode_16_64 3
		.amdhsa_dx10_clamp 1
		.amdhsa_ieee_mode 1
		.amdhsa_fp16_overflow 0
		.amdhsa_workgroup_processor_mode 1
		.amdhsa_memory_ordered 1
		.amdhsa_forward_progress 0
		.amdhsa_shared_vgpr_count 0
		.amdhsa_exception_fp_ieee_invalid_op 0
		.amdhsa_exception_fp_denorm_src 0
		.amdhsa_exception_fp_ieee_div_zero 0
		.amdhsa_exception_fp_ieee_overflow 0
		.amdhsa_exception_fp_ieee_underflow 0
		.amdhsa_exception_fp_ieee_inexact 0
		.amdhsa_exception_int_div_zero 0
	.end_amdhsa_kernel
	.section	.text._ZN2at6native30max_unpooling3d_forward_kernelIN3c104HalfEEEvN5torch10headeronly6detail27GenericPackedTensorAccessorINS6_14TensorAccessorINS2_8ArrayRefIlEEKT_Lm3ENS5_16DefaultPtrTraitsElEENS_6detail16IndexBoundsCheckILm4ElEESC_Lm4ESD_lEENS7_INS8_ISA_KlLm3ESD_lEESH_SJ_Lm4ESD_lEEPSB_llll,"axG",@progbits,_ZN2at6native30max_unpooling3d_forward_kernelIN3c104HalfEEEvN5torch10headeronly6detail27GenericPackedTensorAccessorINS6_14TensorAccessorINS2_8ArrayRefIlEEKT_Lm3ENS5_16DefaultPtrTraitsElEENS_6detail16IndexBoundsCheckILm4ElEESC_Lm4ESD_lEENS7_INS8_ISA_KlLm3ESD_lEESH_SJ_Lm4ESD_lEEPSB_llll,comdat
.Lfunc_end16:
	.size	_ZN2at6native30max_unpooling3d_forward_kernelIN3c104HalfEEEvN5torch10headeronly6detail27GenericPackedTensorAccessorINS6_14TensorAccessorINS2_8ArrayRefIlEEKT_Lm3ENS5_16DefaultPtrTraitsElEENS_6detail16IndexBoundsCheckILm4ElEESC_Lm4ESD_lEENS7_INS8_ISA_KlLm3ESD_lEESH_SJ_Lm4ESD_lEEPSB_llll, .Lfunc_end16-_ZN2at6native30max_unpooling3d_forward_kernelIN3c104HalfEEEvN5torch10headeronly6detail27GenericPackedTensorAccessorINS6_14TensorAccessorINS2_8ArrayRefIlEEKT_Lm3ENS5_16DefaultPtrTraitsElEENS_6detail16IndexBoundsCheckILm4ElEESC_Lm4ESD_lEENS7_INS8_ISA_KlLm3ESD_lEESH_SJ_Lm4ESD_lEEPSB_llll
                                        ; -- End function
	.section	.AMDGPU.csdata,"",@progbits
; Kernel info:
; codeLenInByte = 1612
; NumSgprs: 31
; NumVgprs: 12
; ScratchSize: 0
; MemoryBound: 0
; FloatMode: 240
; IeeeMode: 1
; LDSByteSize: 0 bytes/workgroup (compile time only)
; SGPRBlocks: 3
; VGPRBlocks: 1
; NumSGPRsForWavesPerEU: 31
; NumVGPRsForWavesPerEU: 12
; Occupancy: 16
; WaveLimiterHint : 1
; COMPUTE_PGM_RSRC2:SCRATCH_EN: 0
; COMPUTE_PGM_RSRC2:USER_SGPR: 13
; COMPUTE_PGM_RSRC2:TRAP_HANDLER: 0
; COMPUTE_PGM_RSRC2:TGID_X_EN: 1
; COMPUTE_PGM_RSRC2:TGID_Y_EN: 1
; COMPUTE_PGM_RSRC2:TGID_Z_EN: 1
; COMPUTE_PGM_RSRC2:TIDIG_COMP_CNT: 1
	.section	.text._ZN2at6native30max_unpooling3d_forward_kernelIN3c108BFloat16EEEvN5torch10headeronly6detail27GenericPackedTensorAccessorINS6_14TensorAccessorINS2_8ArrayRefIlEEKT_Lm3ENS5_16DefaultPtrTraitsElEENS_6detail16IndexBoundsCheckILm4ElEESC_Lm4ESD_lEENS7_INS8_ISA_KlLm3ESD_lEESH_SJ_Lm4ESD_lEEPSB_llll,"axG",@progbits,_ZN2at6native30max_unpooling3d_forward_kernelIN3c108BFloat16EEEvN5torch10headeronly6detail27GenericPackedTensorAccessorINS6_14TensorAccessorINS2_8ArrayRefIlEEKT_Lm3ENS5_16DefaultPtrTraitsElEENS_6detail16IndexBoundsCheckILm4ElEESC_Lm4ESD_lEENS7_INS8_ISA_KlLm3ESD_lEESH_SJ_Lm4ESD_lEEPSB_llll,comdat
	.protected	_ZN2at6native30max_unpooling3d_forward_kernelIN3c108BFloat16EEEvN5torch10headeronly6detail27GenericPackedTensorAccessorINS6_14TensorAccessorINS2_8ArrayRefIlEEKT_Lm3ENS5_16DefaultPtrTraitsElEENS_6detail16IndexBoundsCheckILm4ElEESC_Lm4ESD_lEENS7_INS8_ISA_KlLm3ESD_lEESH_SJ_Lm4ESD_lEEPSB_llll ; -- Begin function _ZN2at6native30max_unpooling3d_forward_kernelIN3c108BFloat16EEEvN5torch10headeronly6detail27GenericPackedTensorAccessorINS6_14TensorAccessorINS2_8ArrayRefIlEEKT_Lm3ENS5_16DefaultPtrTraitsElEENS_6detail16IndexBoundsCheckILm4ElEESC_Lm4ESD_lEENS7_INS8_ISA_KlLm3ESD_lEESH_SJ_Lm4ESD_lEEPSB_llll
	.globl	_ZN2at6native30max_unpooling3d_forward_kernelIN3c108BFloat16EEEvN5torch10headeronly6detail27GenericPackedTensorAccessorINS6_14TensorAccessorINS2_8ArrayRefIlEEKT_Lm3ENS5_16DefaultPtrTraitsElEENS_6detail16IndexBoundsCheckILm4ElEESC_Lm4ESD_lEENS7_INS8_ISA_KlLm3ESD_lEESH_SJ_Lm4ESD_lEEPSB_llll
	.p2align	8
	.type	_ZN2at6native30max_unpooling3d_forward_kernelIN3c108BFloat16EEEvN5torch10headeronly6detail27GenericPackedTensorAccessorINS6_14TensorAccessorINS2_8ArrayRefIlEEKT_Lm3ENS5_16DefaultPtrTraitsElEENS_6detail16IndexBoundsCheckILm4ElEESC_Lm4ESD_lEENS7_INS8_ISA_KlLm3ESD_lEESH_SJ_Lm4ESD_lEEPSB_llll,@function
_ZN2at6native30max_unpooling3d_forward_kernelIN3c108BFloat16EEEvN5torch10headeronly6detail27GenericPackedTensorAccessorINS6_14TensorAccessorINS2_8ArrayRefIlEEKT_Lm3ENS5_16DefaultPtrTraitsElEENS_6detail16IndexBoundsCheckILm4ElEESC_Lm4ESD_lEENS7_INS8_ISA_KlLm3ESD_lEESH_SJ_Lm4ESD_lEEPSB_llll: ; @_ZN2at6native30max_unpooling3d_forward_kernelIN3c108BFloat16EEEvN5torch10headeronly6detail27GenericPackedTensorAccessorINS6_14TensorAccessorINS2_8ArrayRefIlEEKT_Lm3ENS5_16DefaultPtrTraitsElEENS_6detail16IndexBoundsCheckILm4ElEESC_Lm4ESD_lEENS7_INS8_ISA_KlLm3ESD_lEESH_SJ_Lm4ESD_lEEPSB_llll
; %bb.0:
	s_clause 0x1
	s_load_b64 s[2:3], s[0:1], 0xb0
	s_load_b64 s[22:23], s[0:1], 0x10
	s_waitcnt lgkmcnt(0)
	s_add_u32 s20, s15, s2
	s_addc_u32 s21, 0, s3
	s_delay_alu instid0(SALU_CYCLE_1) | instskip(SKIP_1) | instid1(SALU_CYCLE_1)
	s_or_b64 s[2:3], s[20:21], s[22:23]
	s_mov_b32 s2, 0
	s_cmp_lg_u64 s[2:3], 0
	s_cbranch_scc0 .LBB17_8
; %bb.1:
	s_ashr_i32 s4, s23, 31
	s_delay_alu instid0(SALU_CYCLE_1) | instskip(SKIP_2) | instid1(SALU_CYCLE_1)
	s_add_u32 s6, s22, s4
	s_mov_b32 s5, s4
	s_addc_u32 s7, s23, s4
	s_xor_b64 s[6:7], s[6:7], s[4:5]
	s_delay_alu instid0(SALU_CYCLE_1) | instskip(SKIP_3) | instid1(VALU_DEP_1)
	v_cvt_f32_u32_e32 v1, s6
	v_cvt_f32_u32_e32 v2, s7
	s_sub_u32 s9, 0, s6
	s_subb_u32 s10, 0, s7
	v_fmamk_f32 v1, v2, 0x4f800000, v1
	s_delay_alu instid0(VALU_DEP_1) | instskip(SKIP_2) | instid1(VALU_DEP_1)
	v_rcp_f32_e32 v1, v1
	s_waitcnt_depctr 0xfff
	v_mul_f32_e32 v1, 0x5f7ffffc, v1
	v_mul_f32_e32 v2, 0x2f800000, v1
	s_delay_alu instid0(VALU_DEP_1) | instskip(NEXT) | instid1(VALU_DEP_1)
	v_trunc_f32_e32 v2, v2
	v_fmamk_f32 v1, v2, 0xcf800000, v1
	v_cvt_u32_f32_e32 v2, v2
	s_delay_alu instid0(VALU_DEP_2) | instskip(NEXT) | instid1(VALU_DEP_2)
	v_cvt_u32_f32_e32 v1, v1
	v_readfirstlane_b32 s3, v2
	s_delay_alu instid0(VALU_DEP_2) | instskip(NEXT) | instid1(VALU_DEP_2)
	v_readfirstlane_b32 s8, v1
	s_mul_i32 s11, s9, s3
	s_delay_alu instid0(VALU_DEP_1)
	s_mul_hi_u32 s15, s9, s8
	s_mul_i32 s12, s10, s8
	s_add_i32 s11, s15, s11
	s_mul_i32 s16, s9, s8
	s_add_i32 s11, s11, s12
	s_mul_hi_u32 s15, s8, s16
	s_mul_hi_u32 s17, s3, s16
	s_mul_i32 s12, s3, s16
	s_mul_hi_u32 s16, s8, s11
	s_mul_i32 s8, s8, s11
	s_mul_hi_u32 s18, s3, s11
	s_add_u32 s8, s15, s8
	s_addc_u32 s15, 0, s16
	s_add_u32 s8, s8, s12
	s_mul_i32 s11, s3, s11
	s_addc_u32 s8, s15, s17
	s_addc_u32 s12, s18, 0
	s_add_u32 s8, s8, s11
	s_addc_u32 s11, 0, s12
	v_add_co_u32 v1, s8, v1, s8
	s_delay_alu instid0(VALU_DEP_1) | instskip(SKIP_1) | instid1(VALU_DEP_1)
	s_cmp_lg_u32 s8, 0
	s_addc_u32 s3, s3, s11
	v_readfirstlane_b32 s8, v1
	s_mul_i32 s11, s9, s3
	s_delay_alu instid0(VALU_DEP_1)
	s_mul_hi_u32 s12, s9, s8
	s_mul_i32 s10, s10, s8
	s_add_i32 s11, s12, s11
	s_mul_i32 s9, s9, s8
	s_add_i32 s11, s11, s10
	s_mul_hi_u32 s12, s3, s9
	s_mul_i32 s15, s3, s9
	s_mul_hi_u32 s9, s8, s9
	s_mul_hi_u32 s16, s8, s11
	s_mul_i32 s8, s8, s11
	s_mul_hi_u32 s10, s3, s11
	s_add_u32 s8, s9, s8
	s_addc_u32 s9, 0, s16
	s_add_u32 s8, s8, s15
	s_mul_i32 s11, s3, s11
	s_addc_u32 s8, s9, s12
	s_addc_u32 s9, s10, 0
	s_add_u32 s8, s8, s11
	s_addc_u32 s9, 0, s9
	v_add_co_u32 v1, s8, v1, s8
	s_delay_alu instid0(VALU_DEP_1) | instskip(SKIP_2) | instid1(VALU_DEP_1)
	s_cmp_lg_u32 s8, 0
	s_addc_u32 s3, s3, s9
	s_ashr_i32 s8, s21, 31
	v_readfirstlane_b32 s12, v1
	s_add_u32 s10, s20, s8
	s_mov_b32 s9, s8
	s_addc_u32 s11, s21, s8
	s_delay_alu instid0(SALU_CYCLE_1) | instskip(NEXT) | instid1(SALU_CYCLE_1)
	s_xor_b64 s[10:11], s[10:11], s[8:9]
	s_mul_i32 s16, s10, s3
	s_mul_hi_u32 s17, s10, s12
	s_mul_hi_u32 s15, s10, s3
	;; [unrolled: 1-line block ×3, first 2 shown]
	s_mul_i32 s12, s11, s12
	s_add_u32 s16, s17, s16
	s_addc_u32 s15, 0, s15
	s_mul_hi_u32 s18, s11, s3
	s_add_u32 s12, s16, s12
	s_mul_i32 s3, s11, s3
	s_addc_u32 s12, s15, s19
	s_addc_u32 s15, s18, 0
	s_add_u32 s3, s12, s3
	s_addc_u32 s12, 0, s15
	s_mul_i32 s18, s6, s3
	s_mul_hi_u32 s15, s6, s3
	s_mul_i32 s17, s6, s12
	v_sub_co_u32 v1, s10, s10, s18
	s_mul_i32 s16, s7, s3
	s_add_i32 s15, s15, s17
	s_delay_alu instid0(SALU_CYCLE_1) | instskip(NEXT) | instid1(VALU_DEP_1)
	s_add_i32 s15, s15, s16
	v_sub_co_u32 v2, s17, v1, s6
	s_sub_i32 s16, s11, s15
	s_cmp_lg_u32 s10, 0
	s_subb_u32 s16, s16, s7
	s_cmp_lg_u32 s17, 0
	v_readfirstlane_b32 s17, v2
	s_subb_u32 s16, s16, 0
	s_delay_alu instid0(SALU_CYCLE_1) | instskip(SKIP_1) | instid1(VALU_DEP_1)
	s_cmp_ge_u32 s16, s7
	s_cselect_b32 s18, -1, 0
	s_cmp_ge_u32 s17, s6
	s_cselect_b32 s17, -1, 0
	s_cmp_eq_u32 s16, s7
	s_cselect_b32 s16, s17, s18
	s_add_u32 s17, s3, 1
	s_addc_u32 s18, s12, 0
	s_add_u32 s19, s3, 2
	s_addc_u32 s24, s12, 0
	s_cmp_lg_u32 s16, 0
	s_cselect_b32 s16, s19, s17
	s_cselect_b32 s17, s24, s18
	s_cmp_lg_u32 s10, 0
	v_readfirstlane_b32 s10, v1
	s_subb_u32 s11, s11, s15
	s_delay_alu instid0(SALU_CYCLE_1) | instskip(SKIP_1) | instid1(VALU_DEP_1)
	s_cmp_ge_u32 s11, s7
	s_cselect_b32 s15, -1, 0
	s_cmp_ge_u32 s10, s6
	s_cselect_b32 s6, -1, 0
	s_cmp_eq_u32 s11, s7
	s_cselect_b32 s6, s6, s15
	s_delay_alu instid0(SALU_CYCLE_1) | instskip(SKIP_3) | instid1(SALU_CYCLE_1)
	s_cmp_lg_u32 s6, 0
	s_cselect_b32 s7, s17, s12
	s_cselect_b32 s6, s16, s3
	s_xor_b64 s[4:5], s[8:9], s[4:5]
	s_xor_b64 s[6:7], s[6:7], s[4:5]
	s_delay_alu instid0(SALU_CYCLE_1)
	s_sub_u32 s24, s6, s4
	s_subb_u32 s25, s7, s5
	s_load_b32 s3, s[0:1], 0xc4
	s_and_not1_b32 vcc_lo, exec_lo, s2
	s_cbranch_vccnz .LBB17_3
.LBB17_2:
	v_cvt_f32_u32_e32 v1, s22
	s_sub_i32 s4, 0, s22
	s_mov_b32 s25, 0
	s_delay_alu instid0(VALU_DEP_1) | instskip(SKIP_2) | instid1(VALU_DEP_1)
	v_rcp_iflag_f32_e32 v1, v1
	s_waitcnt_depctr 0xfff
	v_mul_f32_e32 v1, 0x4f7ffffe, v1
	v_cvt_u32_f32_e32 v1, v1
	s_delay_alu instid0(VALU_DEP_1) | instskip(NEXT) | instid1(VALU_DEP_1)
	v_readfirstlane_b32 s2, v1
	s_mul_i32 s4, s4, s2
	s_delay_alu instid0(SALU_CYCLE_1) | instskip(NEXT) | instid1(SALU_CYCLE_1)
	s_mul_hi_u32 s4, s2, s4
	s_add_i32 s2, s2, s4
	s_delay_alu instid0(SALU_CYCLE_1) | instskip(NEXT) | instid1(SALU_CYCLE_1)
	s_mul_hi_u32 s2, s20, s2
	s_mul_i32 s4, s2, s22
	s_add_i32 s5, s2, 1
	s_sub_i32 s4, s20, s4
	s_delay_alu instid0(SALU_CYCLE_1)
	s_sub_i32 s6, s4, s22
	s_cmp_ge_u32 s4, s22
	s_cselect_b32 s2, s5, s2
	s_cselect_b32 s4, s6, s4
	s_add_i32 s5, s2, 1
	s_cmp_ge_u32 s4, s22
	s_cselect_b32 s24, s5, s2
.LBB17_3:
	s_load_b128 s[4:7], s[0:1], 0x18
	v_bfe_u32 v2, v0, 10, 10
	v_dual_mov_b32 v5, 0 :: v_dual_and_b32 v4, 0x3ff, v0
	s_waitcnt lgkmcnt(0)
	s_lshr_b32 s2, s3, 16
	s_and_b32 s3, s3, 0xffff
	v_mad_u64_u32 v[0:1], null, s14, s2, v[2:3]
	v_mad_u64_u32 v[2:3], null, s3, s13, v[4:5]
	v_mov_b32_e32 v1, v5
	s_delay_alu instid0(VALU_DEP_1) | instskip(NEXT) | instid1(VALU_DEP_3)
	v_cmp_gt_i64_e32 vcc_lo, s[4:5], v[0:1]
	v_cmp_gt_i64_e64 s2, s[6:7], v[2:3]
	s_delay_alu instid0(VALU_DEP_1) | instskip(NEXT) | instid1(SALU_CYCLE_1)
	s_and_b32 s2, vcc_lo, s2
	s_and_saveexec_b32 s3, s2
	s_cbranch_execz .LBB17_7
; %bb.4:
	s_clause 0x1
	s_load_b256 s[4:11], s[0:1], 0x90
	s_load_b256 s[12:19], s[0:1], 0x70
	s_mul_i32 s2, s24, s23
	s_mul_hi_u32 s3, s24, s22
	s_mul_i32 s26, s25, s22
	s_mul_i32 s27, s24, s22
	s_load_b64 s[22:23], s[0:1], 0x48
	s_add_i32 s2, s3, s2
	s_delay_alu instid0(SALU_CYCLE_1)
	s_add_i32 s2, s2, s26
	s_waitcnt lgkmcnt(0)
	s_mul_i32 s3, s8, s7
	v_mad_u64_u32 v[4:5], null, s16, v0, 0
	s_mul_hi_u32 s7, s8, s6
	s_mul_i32 s9, s9, s6
	s_mul_i32 s6, s8, s6
	s_add_i32 s3, s7, s3
	s_mul_i32 s7, s6, s11
	s_mul_hi_u32 s8, s6, s10
	s_add_i32 s3, s3, s9
	v_mov_b32_e32 v1, v5
	s_add_i32 s7, s8, s7
	s_mul_i32 s3, s3, s10
	s_mul_i32 s26, s12, s25
	s_mul_hi_u32 s28, s12, s24
	s_add_i32 s7, s7, s3
	s_sub_u32 s3, s20, s27
	s_mul_i32 s13, s13, s24
	s_subb_u32 s16, s21, s2
	s_add_i32 s2, s28, s26
	v_mad_u64_u32 v[5:6], null, s17, v0, v[1:2]
	v_mul_lo_u32 v1, s19, v2
	v_mul_lo_u32 v8, s18, v3
	v_mad_u64_u32 v[6:7], null, s18, v2, 0
	s_mul_i32 s8, s12, s24
	s_add_i32 s9, s2, s13
	s_mul_hi_u32 s2, s14, s3
	s_lshl_b64 s[8:9], s[8:9], 3
	s_mul_i32 s11, s14, s16
	s_add_u32 s12, s22, s8
	s_addc_u32 s13, s23, s9
	s_add_i32 s2, s2, s11
	s_mul_i32 s8, s15, s3
	v_add3_u32 v7, v7, v8, v1
	s_add_i32 s9, s2, s8
	s_mul_i32 s8, s14, s3
	v_lshlrev_b64 v[4:5], 3, v[4:5]
	s_lshl_b64 s[8:9], s[8:9], 3
	v_lshlrev_b64 v[6:7], 3, v[6:7]
	s_add_u32 s2, s12, s8
	s_addc_u32 s8, s13, s9
	s_mul_i32 s6, s6, s10
	v_add_co_u32 v1, vcc_lo, s2, v4
	v_add_co_ci_u32_e32 v5, vcc_lo, s8, v5, vcc_lo
	s_delay_alu instid0(VALU_DEP_2) | instskip(NEXT) | instid1(VALU_DEP_2)
	v_add_co_u32 v4, vcc_lo, v1, v6
	v_add_co_ci_u32_e32 v5, vcc_lo, v5, v7, vcc_lo
	global_load_b64 v[4:5], v[4:5], off
	s_waitcnt vmcnt(0)
	v_cmp_lt_i64_e32 vcc_lo, -1, v[4:5]
	v_cmp_gt_i64_e64 s2, s[6:7], v[4:5]
	s_delay_alu instid0(VALU_DEP_1) | instskip(NEXT) | instid1(SALU_CYCLE_1)
	s_and_b32 s2, vcc_lo, s2
	s_and_saveexec_b32 s8, s2
	s_delay_alu instid0(SALU_CYCLE_1)
	s_xor_b32 s2, exec_lo, s8
	s_cbranch_execz .LBB17_6
; %bb.5:
	s_clause 0x1
	s_load_b256 s[8:15], s[0:1], 0x28
	s_load_b64 s[0:1], s[0:1], 0x0
	s_waitcnt lgkmcnt(0)
	v_mad_u64_u32 v[6:7], null, s12, v0, 0
	v_mul_lo_u32 v10, s15, v2
	v_mul_lo_u32 v11, s14, v3
	v_mad_u64_u32 v[8:9], null, s14, v2, 0
	s_mul_i32 s12, s8, s25
	s_mul_hi_u32 s17, s8, s24
	s_delay_alu instid0(VALU_DEP_4)
	v_mov_b32_e32 v1, v7
	s_mul_i32 s9, s9, s24
	s_add_i32 s12, s17, s12
	s_mul_i32 s8, s8, s24
	s_add_i32 s9, s12, s9
	v_mad_u64_u32 v[2:3], null, s13, v0, v[1:2]
	s_lshl_b64 s[8:9], s[8:9], 1
	s_mul_i32 s13, s10, s16
	s_mul_hi_u32 s12, s10, s3
	s_add_u32 s8, s0, s8
	s_mul_i32 s11, s11, s3
	s_addc_u32 s9, s1, s9
	s_delay_alu instid0(VALU_DEP_1)
	v_mov_b32_e32 v7, v2
	s_add_i32 s1, s12, s13
	v_add3_u32 v9, v9, v11, v10
	s_mul_i32 s0, s10, s3
	s_add_i32 s1, s1, s11
	v_lshlrev_b64 v[0:1], 1, v[6:7]
	s_lshl_b64 s[0:1], s[0:1], 1
	v_lshlrev_b64 v[2:3], 1, v[8:9]
	s_add_u32 s0, s8, s0
	s_addc_u32 s1, s9, s1
	s_delay_alu instid0(VALU_DEP_2) | instskip(SKIP_2) | instid1(VALU_DEP_2)
	v_add_co_u32 v0, vcc_lo, s0, v0
	v_add_co_ci_u32_e32 v1, vcc_lo, s1, v1, vcc_lo
	s_mul_i32 s0, s6, s25
	v_add_co_u32 v0, vcc_lo, v0, v2
	s_delay_alu instid0(VALU_DEP_2) | instskip(SKIP_1) | instid1(SALU_CYCLE_1)
	v_add_co_ci_u32_e32 v1, vcc_lo, v1, v3, vcc_lo
	s_mul_hi_u32 s1, s6, s24
	s_add_i32 s0, s1, s0
	global_load_u16 v2, v[0:1], off
	s_mul_i32 s1, s7, s24
	v_lshlrev_b64 v[0:1], 1, v[4:5]
	s_add_i32 s1, s0, s1
	s_mul_i32 s0, s6, s24
	s_delay_alu instid0(SALU_CYCLE_1) | instskip(NEXT) | instid1(SALU_CYCLE_1)
	s_lshl_b64 s[0:1], s[0:1], 1
	s_add_u32 s0, s4, s0
	s_addc_u32 s1, s5, s1
	v_add_co_u32 v0, vcc_lo, s0, v0
	v_add_co_ci_u32_e32 v1, vcc_lo, s1, v1, vcc_lo
	s_waitcnt vmcnt(0)
	global_store_b16 v[0:1], v2, off
.LBB17_6:
	s_and_not1_saveexec_b32 s0, s2
	s_cbranch_execnz .LBB17_9
.LBB17_7:
	s_nop 0
	s_sendmsg sendmsg(MSG_DEALLOC_VGPRS)
	s_endpgm
.LBB17_8:
                                        ; implicit-def: $sgpr24_sgpr25
	s_load_b32 s3, s[0:1], 0xc4
	s_branch .LBB17_2
.LBB17_9:
	s_cbranch_execnz .LBB17_11
; %bb.10:
	; divergent unreachable
	s_nop 0
	s_sendmsg sendmsg(MSG_DEALLOC_VGPRS)
	s_endpgm
.LBB17_11:
	s_trap 2
	s_sendmsg_rtn_b32 s0, sendmsg(MSG_RTN_GET_DOORBELL)
	s_mov_b32 ttmp2, m0
	s_waitcnt lgkmcnt(0)
	s_and_b32 s0, s0, 0x3ff
	s_delay_alu instid0(SALU_CYCLE_1) | instskip(NEXT) | instid1(SALU_CYCLE_1)
	s_bitset1_b32 s0, 10
	s_mov_b32 m0, s0
	s_sendmsg sendmsg(MSG_INTERRUPT)
	s_mov_b32 m0, ttmp2
.LBB17_12:                              ; =>This Inner Loop Header: Depth=1
	s_sethalt 5
	s_branch .LBB17_12
	.section	.rodata,"a",@progbits
	.p2align	6, 0x0
	.amdhsa_kernel _ZN2at6native30max_unpooling3d_forward_kernelIN3c108BFloat16EEEvN5torch10headeronly6detail27GenericPackedTensorAccessorINS6_14TensorAccessorINS2_8ArrayRefIlEEKT_Lm3ENS5_16DefaultPtrTraitsElEENS_6detail16IndexBoundsCheckILm4ElEESC_Lm4ESD_lEENS7_INS8_ISA_KlLm3ESD_lEESH_SJ_Lm4ESD_lEEPSB_llll
		.amdhsa_group_segment_fixed_size 0
		.amdhsa_private_segment_fixed_size 0
		.amdhsa_kernarg_size 440
		.amdhsa_user_sgpr_count 13
		.amdhsa_user_sgpr_dispatch_ptr 0
		.amdhsa_user_sgpr_queue_ptr 0
		.amdhsa_user_sgpr_kernarg_segment_ptr 1
		.amdhsa_user_sgpr_dispatch_id 0
		.amdhsa_user_sgpr_private_segment_size 0
		.amdhsa_wavefront_size32 1
		.amdhsa_uses_dynamic_stack 0
		.amdhsa_enable_private_segment 0
		.amdhsa_system_sgpr_workgroup_id_x 1
		.amdhsa_system_sgpr_workgroup_id_y 1
		.amdhsa_system_sgpr_workgroup_id_z 1
		.amdhsa_system_sgpr_workgroup_info 0
		.amdhsa_system_vgpr_workitem_id 1
		.amdhsa_next_free_vgpr 12
		.amdhsa_next_free_sgpr 29
		.amdhsa_reserve_vcc 1
		.amdhsa_float_round_mode_32 0
		.amdhsa_float_round_mode_16_64 0
		.amdhsa_float_denorm_mode_32 3
		.amdhsa_float_denorm_mode_16_64 3
		.amdhsa_dx10_clamp 1
		.amdhsa_ieee_mode 1
		.amdhsa_fp16_overflow 0
		.amdhsa_workgroup_processor_mode 1
		.amdhsa_memory_ordered 1
		.amdhsa_forward_progress 0
		.amdhsa_shared_vgpr_count 0
		.amdhsa_exception_fp_ieee_invalid_op 0
		.amdhsa_exception_fp_denorm_src 0
		.amdhsa_exception_fp_ieee_div_zero 0
		.amdhsa_exception_fp_ieee_overflow 0
		.amdhsa_exception_fp_ieee_underflow 0
		.amdhsa_exception_fp_ieee_inexact 0
		.amdhsa_exception_int_div_zero 0
	.end_amdhsa_kernel
	.section	.text._ZN2at6native30max_unpooling3d_forward_kernelIN3c108BFloat16EEEvN5torch10headeronly6detail27GenericPackedTensorAccessorINS6_14TensorAccessorINS2_8ArrayRefIlEEKT_Lm3ENS5_16DefaultPtrTraitsElEENS_6detail16IndexBoundsCheckILm4ElEESC_Lm4ESD_lEENS7_INS8_ISA_KlLm3ESD_lEESH_SJ_Lm4ESD_lEEPSB_llll,"axG",@progbits,_ZN2at6native30max_unpooling3d_forward_kernelIN3c108BFloat16EEEvN5torch10headeronly6detail27GenericPackedTensorAccessorINS6_14TensorAccessorINS2_8ArrayRefIlEEKT_Lm3ENS5_16DefaultPtrTraitsElEENS_6detail16IndexBoundsCheckILm4ElEESC_Lm4ESD_lEENS7_INS8_ISA_KlLm3ESD_lEESH_SJ_Lm4ESD_lEEPSB_llll,comdat
.Lfunc_end17:
	.size	_ZN2at6native30max_unpooling3d_forward_kernelIN3c108BFloat16EEEvN5torch10headeronly6detail27GenericPackedTensorAccessorINS6_14TensorAccessorINS2_8ArrayRefIlEEKT_Lm3ENS5_16DefaultPtrTraitsElEENS_6detail16IndexBoundsCheckILm4ElEESC_Lm4ESD_lEENS7_INS8_ISA_KlLm3ESD_lEESH_SJ_Lm4ESD_lEEPSB_llll, .Lfunc_end17-_ZN2at6native30max_unpooling3d_forward_kernelIN3c108BFloat16EEEvN5torch10headeronly6detail27GenericPackedTensorAccessorINS6_14TensorAccessorINS2_8ArrayRefIlEEKT_Lm3ENS5_16DefaultPtrTraitsElEENS_6detail16IndexBoundsCheckILm4ElEESC_Lm4ESD_lEENS7_INS8_ISA_KlLm3ESD_lEESH_SJ_Lm4ESD_lEEPSB_llll
                                        ; -- End function
	.section	.AMDGPU.csdata,"",@progbits
; Kernel info:
; codeLenInByte = 1612
; NumSgprs: 31
; NumVgprs: 12
; ScratchSize: 0
; MemoryBound: 0
; FloatMode: 240
; IeeeMode: 1
; LDSByteSize: 0 bytes/workgroup (compile time only)
; SGPRBlocks: 3
; VGPRBlocks: 1
; NumSGPRsForWavesPerEU: 31
; NumVGPRsForWavesPerEU: 12
; Occupancy: 16
; WaveLimiterHint : 1
; COMPUTE_PGM_RSRC2:SCRATCH_EN: 0
; COMPUTE_PGM_RSRC2:USER_SGPR: 13
; COMPUTE_PGM_RSRC2:TRAP_HANDLER: 0
; COMPUTE_PGM_RSRC2:TGID_X_EN: 1
; COMPUTE_PGM_RSRC2:TGID_Y_EN: 1
; COMPUTE_PGM_RSRC2:TGID_Z_EN: 1
; COMPUTE_PGM_RSRC2:TIDIG_COMP_CNT: 1
	.section	.text._ZN2at6native31max_unpooling2d_backward_kernelIhEEvlPKT_PKllllllPS2_,"axG",@progbits,_ZN2at6native31max_unpooling2d_backward_kernelIhEEvlPKT_PKllllllPS2_,comdat
	.protected	_ZN2at6native31max_unpooling2d_backward_kernelIhEEvlPKT_PKllllllPS2_ ; -- Begin function _ZN2at6native31max_unpooling2d_backward_kernelIhEEvlPKT_PKllllllPS2_
	.globl	_ZN2at6native31max_unpooling2d_backward_kernelIhEEvlPKT_PKllllllPS2_
	.p2align	8
	.type	_ZN2at6native31max_unpooling2d_backward_kernelIhEEvlPKT_PKllllllPS2_,@function
_ZN2at6native31max_unpooling2d_backward_kernelIhEEvlPKT_PKllllllPS2_: ; @_ZN2at6native31max_unpooling2d_backward_kernelIhEEvlPKT_PKllllllPS2_
; %bb.0:
	s_clause 0x1
	s_load_b32 s4, s[0:1], 0x54
	s_load_b512 s[16:31], s[0:1], 0x0
	v_mov_b32_e32 v2, 0
	s_add_u32 s2, s0, 0x48
	s_addc_u32 s3, s1, 0
	s_mov_b32 s5, exec_lo
	s_delay_alu instid0(VALU_DEP_1)
	v_mov_b32_e32 v1, v2
	s_waitcnt lgkmcnt(0)
	s_and_b32 s4, s4, 0xffff
	s_delay_alu instid0(VALU_DEP_1) | instid1(SALU_CYCLE_1)
	v_mad_u64_u32 v[4:5], null, s4, s15, v[0:1]
	s_delay_alu instid0(VALU_DEP_1)
	v_cmpx_gt_i64_e64 s[16:17], v[4:5]
	s_cbranch_execz .LBB18_15
; %bb.1:
	v_cvt_f32_u32_e32 v0, s26
	s_load_b32 s5, s[2:3], 0x0
	s_sub_i32 s2, 0, s26
	s_mul_hi_u32 s6, s30, s28
	v_dual_mov_b32 v6, s18 :: v_dual_mov_b32 v7, s19
	v_rcp_iflag_f32_e32 v0, v0
	s_mul_i32 s7, s31, s28
	s_mov_b32 s12, 0
	s_waitcnt_depctr 0xfff
	v_dual_mov_b32 v3, v4 :: v_dual_mul_f32 v0, 0x4f7ffffe, v0
	s_delay_alu instid0(VALU_DEP_1)
	v_cvt_u32_f32_e32 v0, v0
	s_waitcnt lgkmcnt(0)
	s_mul_i32 s14, s5, s4
	s_ashr_i32 s4, s27, 31
	s_mov_b32 s15, s14
	v_mul_lo_u32 v1, s2, v0
	s_load_b64 s[2:3], s[0:1], 0x40
	s_mul_i32 s0, s30, s29
	s_mul_i32 s1, s30, s28
	s_add_i32 s0, s6, s0
	s_ashr_i32 s6, s25, 31
	s_add_i32 s13, s0, s7
	s_delay_alu instid0(VALU_DEP_1) | instskip(NEXT) | instid1(VALU_DEP_1)
	v_mul_hi_u32 v1, v0, v1
	v_add_nc_u32_e32 v14, v0, v1
	v_dual_mov_b32 v0, v2 :: v_dual_mov_b32 v1, v3
	s_branch .LBB18_3
.LBB18_2:                               ;   in Loop: Header=BB18_3 Depth=1
	s_or_b32 exec_lo, exec_lo, s0
	v_lshlrev_b64 v[15:16], 3, v[8:9]
	s_delay_alu instid0(VALU_DEP_2) | instskip(SKIP_2) | instid1(VALU_DEP_1)
	v_mul_lo_u32 v11, v12, s22
	v_ashrrev_i32_e32 v13, 31, v12
	v_add_co_u32 v0, s0, v0, 0
	v_add_co_ci_u32_e64 v1, s0, s15, v1, s0
	v_add_co_u32 v15, vcc_lo, s20, v15
	v_add_co_ci_u32_e32 v16, vcc_lo, s21, v16, vcc_lo
	v_sub_nc_u32_e32 v10, v10, v11
	global_load_b32 v3, v[15:16], off
	v_ashrrev_i32_e32 v11, 31, v10
	s_delay_alu instid0(VALU_DEP_1) | instskip(SKIP_2) | instid1(VALU_DEP_3)
	v_mad_u64_u32 v[15:16], null, v12, s22, v[10:11]
	v_mul_lo_u32 v10, v12, s23
	v_mul_lo_u32 v11, v13, s22
	;; [unrolled: 1-line block ×3, first 2 shown]
	s_delay_alu instid0(VALU_DEP_2) | instskip(NEXT) | instid1(VALU_DEP_1)
	v_add3_u32 v10, v11, v16, v10
	v_mul_lo_u32 v13, s1, v10
	v_mad_u64_u32 v[10:11], null, s1, v15, v[6:7]
	s_delay_alu instid0(VALU_DEP_1) | instskip(SKIP_2) | instid1(VALU_DEP_3)
	v_add3_u32 v11, v12, v11, v13
	s_waitcnt vmcnt(0)
	v_ashrrev_i32_e32 v7, 31, v3
	v_add_co_u32 v6, vcc_lo, v10, v3
	s_delay_alu instid0(VALU_DEP_2)
	v_add_co_ci_u32_e32 v7, vcc_lo, v11, v7, vcc_lo
	v_add_co_u32 v4, vcc_lo, v4, s14
	v_add_co_ci_u32_e32 v5, vcc_lo, 0, v5, vcc_lo
	global_load_u8 v3, v[6:7], off
	s_waitcnt lgkmcnt(0)
	v_add_co_u32 v8, vcc_lo, s2, v8
	v_add_co_ci_u32_e32 v9, vcc_lo, s3, v9, vcc_lo
	v_cmp_le_i64_e32 vcc_lo, s[16:17], v[4:5]
	v_dual_mov_b32 v6, v10 :: v_dual_mov_b32 v7, v11
	s_or_b32 s12, vcc_lo, s12
	s_waitcnt vmcnt(0)
	global_store_b8 v[8:9], v3, off
	s_and_not1_b32 exec_lo, exec_lo, s12
	s_cbranch_execz .LBB18_15
.LBB18_3:                               ; =>This Inner Loop Header: Depth=1
	s_delay_alu instid0(VALU_DEP_1) | instskip(SKIP_2) | instid1(VALU_DEP_2)
	v_ashrrev_i32_e32 v9, 31, v1
	v_mov_b32_e32 v8, v1
                                        ; implicit-def: $vgpr12_vgpr13
	s_mov_b32 s0, exec_lo
	v_or_b32_e32 v3, s27, v9
	s_delay_alu instid0(VALU_DEP_1)
	v_cmpx_ne_u64_e32 0, v[2:3]
	s_xor_b32 s7, exec_lo, s0
	s_cbranch_execz .LBB18_5
; %bb.4:                                ;   in Loop: Header=BB18_3 Depth=1
	s_add_u32 s8, s26, s4
	s_mov_b32 s5, s4
	s_addc_u32 s9, s27, s4
	s_delay_alu instid0(SALU_CYCLE_1) | instskip(NEXT) | instid1(SALU_CYCLE_1)
	s_xor_b64 s[8:9], s[8:9], s[4:5]
	v_cvt_f32_u32_e32 v3, s8
	v_cvt_f32_u32_e32 v10, s9
	s_sub_u32 s0, 0, s8
	s_subb_u32 s5, 0, s9
	s_delay_alu instid0(VALU_DEP_1) | instskip(NEXT) | instid1(VALU_DEP_1)
	v_fmac_f32_e32 v3, 0x4f800000, v10
	v_rcp_f32_e32 v3, v3
	s_waitcnt_depctr 0xfff
	v_mul_f32_e32 v3, 0x5f7ffffc, v3
	s_delay_alu instid0(VALU_DEP_1) | instskip(NEXT) | instid1(VALU_DEP_1)
	v_mul_f32_e32 v10, 0x2f800000, v3
	v_trunc_f32_e32 v10, v10
	s_delay_alu instid0(VALU_DEP_1) | instskip(SKIP_1) | instid1(VALU_DEP_2)
	v_fmac_f32_e32 v3, 0xcf800000, v10
	v_cvt_u32_f32_e32 v10, v10
	v_cvt_u32_f32_e32 v3, v3
	s_delay_alu instid0(VALU_DEP_2) | instskip(NEXT) | instid1(VALU_DEP_2)
	v_mul_lo_u32 v11, s0, v10
	v_mul_hi_u32 v12, s0, v3
	v_mul_lo_u32 v13, s5, v3
	s_delay_alu instid0(VALU_DEP_2) | instskip(SKIP_1) | instid1(VALU_DEP_2)
	v_add_nc_u32_e32 v11, v12, v11
	v_mul_lo_u32 v12, s0, v3
	v_add_nc_u32_e32 v11, v11, v13
	s_delay_alu instid0(VALU_DEP_2) | instskip(NEXT) | instid1(VALU_DEP_2)
	v_mul_hi_u32 v13, v3, v12
	v_mul_lo_u32 v15, v3, v11
	v_mul_hi_u32 v16, v3, v11
	v_mul_hi_u32 v17, v10, v12
	v_mul_lo_u32 v12, v10, v12
	v_mul_hi_u32 v18, v10, v11
	v_mul_lo_u32 v11, v10, v11
	v_add_co_u32 v13, vcc_lo, v13, v15
	v_add_co_ci_u32_e32 v15, vcc_lo, 0, v16, vcc_lo
	s_delay_alu instid0(VALU_DEP_2) | instskip(NEXT) | instid1(VALU_DEP_2)
	v_add_co_u32 v12, vcc_lo, v13, v12
	v_add_co_ci_u32_e32 v12, vcc_lo, v15, v17, vcc_lo
	v_add_co_ci_u32_e32 v13, vcc_lo, 0, v18, vcc_lo
	v_ashrrev_i32_e32 v17, 31, v9
	s_delay_alu instid0(VALU_DEP_3) | instskip(NEXT) | instid1(VALU_DEP_3)
	v_add_co_u32 v11, vcc_lo, v12, v11
	v_add_co_ci_u32_e32 v12, vcc_lo, 0, v13, vcc_lo
	s_delay_alu instid0(VALU_DEP_2) | instskip(NEXT) | instid1(VALU_DEP_2)
	v_add_co_u32 v3, vcc_lo, v3, v11
	v_add_co_ci_u32_e32 v10, vcc_lo, v10, v12, vcc_lo
	s_delay_alu instid0(VALU_DEP_2) | instskip(SKIP_1) | instid1(VALU_DEP_3)
	v_mul_hi_u32 v11, s0, v3
	v_mul_lo_u32 v13, s5, v3
	v_mul_lo_u32 v12, s0, v10
	s_delay_alu instid0(VALU_DEP_1) | instskip(SKIP_1) | instid1(VALU_DEP_2)
	v_add_nc_u32_e32 v11, v11, v12
	v_mul_lo_u32 v12, s0, v3
	v_add_nc_u32_e32 v11, v11, v13
	s_delay_alu instid0(VALU_DEP_2) | instskip(NEXT) | instid1(VALU_DEP_2)
	v_mul_hi_u32 v13, v3, v12
	v_mul_lo_u32 v15, v3, v11
	v_mul_hi_u32 v16, v3, v11
	v_mul_hi_u32 v18, v10, v12
	v_mul_lo_u32 v12, v10, v12
	v_mul_hi_u32 v19, v10, v11
	v_mul_lo_u32 v11, v10, v11
	v_add_co_u32 v13, vcc_lo, v13, v15
	v_add_co_ci_u32_e32 v15, vcc_lo, 0, v16, vcc_lo
	s_delay_alu instid0(VALU_DEP_2) | instskip(NEXT) | instid1(VALU_DEP_2)
	v_add_co_u32 v12, vcc_lo, v13, v12
	v_add_co_ci_u32_e32 v12, vcc_lo, v15, v18, vcc_lo
	v_add_co_ci_u32_e32 v13, vcc_lo, 0, v19, vcc_lo
	v_add_co_u32 v15, vcc_lo, v8, v17
	v_add_co_ci_u32_e32 v16, vcc_lo, v9, v17, vcc_lo
	s_delay_alu instid0(VALU_DEP_4) | instskip(NEXT) | instid1(VALU_DEP_4)
	v_add_co_u32 v11, vcc_lo, v12, v11
	v_add_co_ci_u32_e32 v12, vcc_lo, 0, v13, vcc_lo
	s_delay_alu instid0(VALU_DEP_4) | instskip(NEXT) | instid1(VALU_DEP_3)
	v_xor_b32_e32 v18, v15, v17
	v_add_co_u32 v3, vcc_lo, v3, v11
	s_delay_alu instid0(VALU_DEP_3) | instskip(SKIP_1) | instid1(VALU_DEP_3)
	v_add_co_ci_u32_e32 v19, vcc_lo, v10, v12, vcc_lo
	v_xor_b32_e32 v20, v16, v17
	v_mul_hi_u32 v21, v18, v3
	s_delay_alu instid0(VALU_DEP_3) | instskip(NEXT) | instid1(VALU_DEP_3)
	v_mad_u64_u32 v[10:11], null, v18, v19, 0
	v_mad_u64_u32 v[12:13], null, v20, v3, 0
	;; [unrolled: 1-line block ×3, first 2 shown]
	s_delay_alu instid0(VALU_DEP_3) | instskip(NEXT) | instid1(VALU_DEP_4)
	v_add_co_u32 v3, vcc_lo, v21, v10
	v_add_co_ci_u32_e32 v10, vcc_lo, 0, v11, vcc_lo
	s_delay_alu instid0(VALU_DEP_2) | instskip(NEXT) | instid1(VALU_DEP_2)
	v_add_co_u32 v3, vcc_lo, v3, v12
	v_add_co_ci_u32_e32 v3, vcc_lo, v10, v13, vcc_lo
	v_add_co_ci_u32_e32 v10, vcc_lo, 0, v16, vcc_lo
	s_delay_alu instid0(VALU_DEP_2) | instskip(NEXT) | instid1(VALU_DEP_2)
	v_add_co_u32 v3, vcc_lo, v3, v15
	v_add_co_ci_u32_e32 v12, vcc_lo, 0, v10, vcc_lo
	s_delay_alu instid0(VALU_DEP_2) | instskip(SKIP_1) | instid1(VALU_DEP_3)
	v_mul_lo_u32 v13, s9, v3
	v_mad_u64_u32 v[10:11], null, s8, v3, 0
	v_mul_lo_u32 v15, s8, v12
	s_delay_alu instid0(VALU_DEP_2) | instskip(NEXT) | instid1(VALU_DEP_2)
	v_sub_co_u32 v10, vcc_lo, v18, v10
	v_add3_u32 v11, v11, v15, v13
	s_delay_alu instid0(VALU_DEP_1) | instskip(NEXT) | instid1(VALU_DEP_1)
	v_sub_nc_u32_e32 v13, v20, v11
	v_subrev_co_ci_u32_e64 v13, s0, s9, v13, vcc_lo
	v_add_co_u32 v15, s0, v3, 2
	s_delay_alu instid0(VALU_DEP_1) | instskip(SKIP_3) | instid1(VALU_DEP_3)
	v_add_co_ci_u32_e64 v16, s0, 0, v12, s0
	v_sub_co_u32 v18, s0, v10, s8
	v_sub_co_ci_u32_e32 v11, vcc_lo, v20, v11, vcc_lo
	v_subrev_co_ci_u32_e64 v13, s0, 0, v13, s0
	v_cmp_le_u32_e32 vcc_lo, s8, v18
	s_delay_alu instid0(VALU_DEP_3) | instskip(SKIP_1) | instid1(VALU_DEP_4)
	v_cmp_eq_u32_e64 s0, s9, v11
	v_cndmask_b32_e64 v18, 0, -1, vcc_lo
	v_cmp_le_u32_e32 vcc_lo, s9, v13
	v_cndmask_b32_e64 v19, 0, -1, vcc_lo
	v_cmp_le_u32_e32 vcc_lo, s8, v10
	;; [unrolled: 2-line block ×3, first 2 shown]
	v_cndmask_b32_e64 v20, 0, -1, vcc_lo
	v_cmp_eq_u32_e32 vcc_lo, s9, v13
	s_delay_alu instid0(VALU_DEP_2) | instskip(SKIP_3) | instid1(VALU_DEP_3)
	v_cndmask_b32_e64 v10, v20, v10, s0
	v_cndmask_b32_e32 v13, v19, v18, vcc_lo
	v_add_co_u32 v18, vcc_lo, v3, 1
	v_add_co_ci_u32_e32 v19, vcc_lo, 0, v12, vcc_lo
	v_cmp_ne_u32_e32 vcc_lo, 0, v13
	s_delay_alu instid0(VALU_DEP_2) | instskip(NEXT) | instid1(VALU_DEP_4)
	v_cndmask_b32_e32 v11, v19, v16, vcc_lo
	v_cndmask_b32_e32 v13, v18, v15, vcc_lo
	v_cmp_ne_u32_e32 vcc_lo, 0, v10
	v_xor_b32_e32 v10, s4, v17
	s_delay_alu instid0(VALU_DEP_3) | instskip(SKIP_1) | instid1(VALU_DEP_2)
	v_cndmask_b32_e32 v3, v3, v13, vcc_lo
	v_cndmask_b32_e32 v11, v12, v11, vcc_lo
	v_xor_b32_e32 v3, v3, v10
	s_delay_alu instid0(VALU_DEP_2) | instskip(NEXT) | instid1(VALU_DEP_2)
	v_xor_b32_e32 v11, v11, v10
	v_sub_co_u32 v12, vcc_lo, v3, v10
	s_delay_alu instid0(VALU_DEP_2)
	v_sub_co_ci_u32_e32 v13, vcc_lo, v11, v10, vcc_lo
.LBB18_5:                               ;   in Loop: Header=BB18_3 Depth=1
	s_and_not1_saveexec_b32 s0, s7
; %bb.6:                                ;   in Loop: Header=BB18_3 Depth=1
	v_mul_hi_u32 v3, v1, v14
	v_mov_b32_e32 v13, v2
	s_delay_alu instid0(VALU_DEP_2) | instskip(NEXT) | instid1(VALU_DEP_1)
	v_mul_lo_u32 v10, v3, s26
	v_sub_nc_u32_e32 v10, v1, v10
	s_delay_alu instid0(VALU_DEP_1) | instskip(SKIP_1) | instid1(VALU_DEP_2)
	v_subrev_nc_u32_e32 v12, s26, v10
	v_cmp_le_u32_e32 vcc_lo, s26, v10
	v_dual_cndmask_b32 v10, v10, v12 :: v_dual_add_nc_u32 v11, 1, v3
	s_delay_alu instid0(VALU_DEP_1) | instskip(NEXT) | instid1(VALU_DEP_2)
	v_cndmask_b32_e32 v3, v3, v11, vcc_lo
	v_cmp_le_u32_e32 vcc_lo, s26, v10
	s_delay_alu instid0(VALU_DEP_2) | instskip(NEXT) | instid1(VALU_DEP_1)
	v_add_nc_u32_e32 v11, 1, v3
	v_cndmask_b32_e32 v12, v3, v11, vcc_lo
; %bb.7:                                ;   in Loop: Header=BB18_3 Depth=1
	s_or_b32 exec_lo, exec_lo, s0
	v_or_b32_e32 v3, s25, v13
                                        ; implicit-def: $vgpr10_vgpr11
	s_mov_b32 s0, exec_lo
	s_delay_alu instid0(VALU_DEP_1)
	v_cmpx_ne_u64_e32 0, v[2:3]
	s_xor_b32 s5, exec_lo, s0
	s_cbranch_execz .LBB18_9
; %bb.8:                                ;   in Loop: Header=BB18_3 Depth=1
	s_add_u32 s8, s24, s6
	s_mov_b32 s7, s6
	s_addc_u32 s9, s25, s6
	s_delay_alu instid0(SALU_CYCLE_1) | instskip(NEXT) | instid1(SALU_CYCLE_1)
	s_xor_b64 s[8:9], s[8:9], s[6:7]
	v_cvt_f32_u32_e32 v3, s8
	v_cvt_f32_u32_e32 v10, s9
	s_sub_u32 s0, 0, s8
	s_subb_u32 s7, 0, s9
	s_delay_alu instid0(VALU_DEP_1) | instskip(NEXT) | instid1(VALU_DEP_1)
	v_fmac_f32_e32 v3, 0x4f800000, v10
	v_rcp_f32_e32 v3, v3
	s_waitcnt_depctr 0xfff
	v_mul_f32_e32 v3, 0x5f7ffffc, v3
	s_delay_alu instid0(VALU_DEP_1) | instskip(NEXT) | instid1(VALU_DEP_1)
	v_mul_f32_e32 v10, 0x2f800000, v3
	v_trunc_f32_e32 v10, v10
	s_delay_alu instid0(VALU_DEP_1) | instskip(SKIP_1) | instid1(VALU_DEP_2)
	v_fmac_f32_e32 v3, 0xcf800000, v10
	v_cvt_u32_f32_e32 v10, v10
	v_cvt_u32_f32_e32 v3, v3
	s_delay_alu instid0(VALU_DEP_2) | instskip(NEXT) | instid1(VALU_DEP_2)
	v_mul_lo_u32 v11, s0, v10
	v_mul_hi_u32 v15, s0, v3
	v_mul_lo_u32 v16, s7, v3
	s_delay_alu instid0(VALU_DEP_2) | instskip(SKIP_1) | instid1(VALU_DEP_2)
	v_add_nc_u32_e32 v11, v15, v11
	v_mul_lo_u32 v15, s0, v3
	v_add_nc_u32_e32 v11, v11, v16
	s_delay_alu instid0(VALU_DEP_2) | instskip(NEXT) | instid1(VALU_DEP_2)
	v_mul_hi_u32 v16, v3, v15
	v_mul_lo_u32 v17, v3, v11
	v_mul_hi_u32 v18, v3, v11
	v_mul_hi_u32 v19, v10, v15
	v_mul_lo_u32 v15, v10, v15
	v_mul_hi_u32 v20, v10, v11
	v_mul_lo_u32 v11, v10, v11
	v_add_co_u32 v16, vcc_lo, v16, v17
	v_add_co_ci_u32_e32 v17, vcc_lo, 0, v18, vcc_lo
	s_delay_alu instid0(VALU_DEP_2) | instskip(NEXT) | instid1(VALU_DEP_2)
	v_add_co_u32 v15, vcc_lo, v16, v15
	v_add_co_ci_u32_e32 v15, vcc_lo, v17, v19, vcc_lo
	v_add_co_ci_u32_e32 v16, vcc_lo, 0, v20, vcc_lo
	v_ashrrev_i32_e32 v19, 31, v13
	s_delay_alu instid0(VALU_DEP_3) | instskip(NEXT) | instid1(VALU_DEP_3)
	v_add_co_u32 v11, vcc_lo, v15, v11
	v_add_co_ci_u32_e32 v15, vcc_lo, 0, v16, vcc_lo
	s_delay_alu instid0(VALU_DEP_2) | instskip(NEXT) | instid1(VALU_DEP_2)
	v_add_co_u32 v3, vcc_lo, v3, v11
	v_add_co_ci_u32_e32 v10, vcc_lo, v10, v15, vcc_lo
	s_delay_alu instid0(VALU_DEP_2) | instskip(SKIP_1) | instid1(VALU_DEP_3)
	v_mul_hi_u32 v11, s0, v3
	v_mul_lo_u32 v16, s7, v3
	v_mul_lo_u32 v15, s0, v10
	s_delay_alu instid0(VALU_DEP_1) | instskip(SKIP_1) | instid1(VALU_DEP_2)
	v_add_nc_u32_e32 v11, v11, v15
	v_mul_lo_u32 v15, s0, v3
	v_add_nc_u32_e32 v11, v11, v16
	s_delay_alu instid0(VALU_DEP_2) | instskip(NEXT) | instid1(VALU_DEP_2)
	v_mul_hi_u32 v16, v3, v15
	v_mul_lo_u32 v17, v3, v11
	v_mul_hi_u32 v18, v3, v11
	v_mul_hi_u32 v20, v10, v15
	v_mul_lo_u32 v15, v10, v15
	v_mul_hi_u32 v21, v10, v11
	v_mul_lo_u32 v11, v10, v11
	v_add_co_u32 v16, vcc_lo, v16, v17
	v_add_co_ci_u32_e32 v17, vcc_lo, 0, v18, vcc_lo
	s_delay_alu instid0(VALU_DEP_2) | instskip(NEXT) | instid1(VALU_DEP_2)
	v_add_co_u32 v15, vcc_lo, v16, v15
	v_add_co_ci_u32_e32 v15, vcc_lo, v17, v20, vcc_lo
	v_add_co_ci_u32_e32 v16, vcc_lo, 0, v21, vcc_lo
	v_add_co_u32 v12, vcc_lo, v12, v19
	v_add_co_ci_u32_e32 v13, vcc_lo, v13, v19, vcc_lo
	s_delay_alu instid0(VALU_DEP_4) | instskip(NEXT) | instid1(VALU_DEP_4)
	v_add_co_u32 v11, vcc_lo, v15, v11
	v_add_co_ci_u32_e32 v15, vcc_lo, 0, v16, vcc_lo
	s_delay_alu instid0(VALU_DEP_4) | instskip(NEXT) | instid1(VALU_DEP_3)
	v_xor_b32_e32 v17, v12, v19
	v_add_co_u32 v3, vcc_lo, v3, v11
	s_delay_alu instid0(VALU_DEP_3) | instskip(SKIP_1) | instid1(VALU_DEP_3)
	v_add_co_ci_u32_e32 v18, vcc_lo, v10, v15, vcc_lo
	v_xor_b32_e32 v20, v13, v19
	v_mul_hi_u32 v21, v17, v3
	s_delay_alu instid0(VALU_DEP_3) | instskip(NEXT) | instid1(VALU_DEP_3)
	v_mad_u64_u32 v[10:11], null, v17, v18, 0
	v_mad_u64_u32 v[12:13], null, v20, v3, 0
	;; [unrolled: 1-line block ×3, first 2 shown]
	s_delay_alu instid0(VALU_DEP_3) | instskip(NEXT) | instid1(VALU_DEP_4)
	v_add_co_u32 v3, vcc_lo, v21, v10
	v_add_co_ci_u32_e32 v10, vcc_lo, 0, v11, vcc_lo
	s_delay_alu instid0(VALU_DEP_2) | instskip(NEXT) | instid1(VALU_DEP_2)
	v_add_co_u32 v3, vcc_lo, v3, v12
	v_add_co_ci_u32_e32 v3, vcc_lo, v10, v13, vcc_lo
	v_add_co_ci_u32_e32 v10, vcc_lo, 0, v16, vcc_lo
	s_delay_alu instid0(VALU_DEP_2) | instskip(NEXT) | instid1(VALU_DEP_2)
	v_add_co_u32 v3, vcc_lo, v3, v15
	v_add_co_ci_u32_e32 v12, vcc_lo, 0, v10, vcc_lo
	s_delay_alu instid0(VALU_DEP_2) | instskip(SKIP_1) | instid1(VALU_DEP_3)
	v_mul_lo_u32 v13, s9, v3
	v_mad_u64_u32 v[10:11], null, s8, v3, 0
	v_mul_lo_u32 v15, s8, v12
	s_delay_alu instid0(VALU_DEP_2) | instskip(NEXT) | instid1(VALU_DEP_2)
	v_sub_co_u32 v10, vcc_lo, v17, v10
	v_add3_u32 v11, v11, v15, v13
	s_delay_alu instid0(VALU_DEP_1) | instskip(NEXT) | instid1(VALU_DEP_1)
	v_sub_nc_u32_e32 v13, v20, v11
	v_subrev_co_ci_u32_e64 v13, s0, s9, v13, vcc_lo
	v_add_co_u32 v15, s0, v3, 2
	s_delay_alu instid0(VALU_DEP_1) | instskip(SKIP_3) | instid1(VALU_DEP_3)
	v_add_co_ci_u32_e64 v16, s0, 0, v12, s0
	v_sub_co_u32 v17, s0, v10, s8
	v_sub_co_ci_u32_e32 v11, vcc_lo, v20, v11, vcc_lo
	v_subrev_co_ci_u32_e64 v13, s0, 0, v13, s0
	v_cmp_le_u32_e32 vcc_lo, s8, v17
	s_delay_alu instid0(VALU_DEP_3) | instskip(SKIP_1) | instid1(VALU_DEP_4)
	v_cmp_eq_u32_e64 s0, s9, v11
	v_cndmask_b32_e64 v17, 0, -1, vcc_lo
	v_cmp_le_u32_e32 vcc_lo, s9, v13
	v_cndmask_b32_e64 v18, 0, -1, vcc_lo
	v_cmp_le_u32_e32 vcc_lo, s8, v10
	;; [unrolled: 2-line block ×3, first 2 shown]
	v_cndmask_b32_e64 v20, 0, -1, vcc_lo
	v_cmp_eq_u32_e32 vcc_lo, s9, v13
	s_delay_alu instid0(VALU_DEP_2) | instskip(SKIP_3) | instid1(VALU_DEP_3)
	v_cndmask_b32_e64 v10, v20, v10, s0
	v_cndmask_b32_e32 v13, v18, v17, vcc_lo
	v_add_co_u32 v17, vcc_lo, v3, 1
	v_add_co_ci_u32_e32 v18, vcc_lo, 0, v12, vcc_lo
	v_cmp_ne_u32_e32 vcc_lo, 0, v13
	s_delay_alu instid0(VALU_DEP_2) | instskip(NEXT) | instid1(VALU_DEP_4)
	v_cndmask_b32_e32 v11, v18, v16, vcc_lo
	v_cndmask_b32_e32 v13, v17, v15, vcc_lo
	v_cmp_ne_u32_e32 vcc_lo, 0, v10
	v_xor_b32_e32 v15, s6, v19
	s_delay_alu instid0(VALU_DEP_3) | instskip(NEXT) | instid1(VALU_DEP_1)
	v_dual_cndmask_b32 v3, v3, v13 :: v_dual_cndmask_b32 v10, v12, v11
                                        ; implicit-def: $vgpr12_vgpr13
	v_xor_b32_e32 v3, v3, v15
	s_delay_alu instid0(VALU_DEP_2) | instskip(NEXT) | instid1(VALU_DEP_2)
	v_xor_b32_e32 v11, v10, v15
	v_sub_co_u32 v10, vcc_lo, v3, v15
	s_delay_alu instid0(VALU_DEP_2)
	v_sub_co_ci_u32_e32 v11, vcc_lo, v11, v15, vcc_lo
.LBB18_9:                               ;   in Loop: Header=BB18_3 Depth=1
	s_and_not1_saveexec_b32 s0, s5
	s_cbranch_execz .LBB18_11
; %bb.10:                               ;   in Loop: Header=BB18_3 Depth=1
	v_cvt_f32_u32_e32 v3, s24
	s_sub_i32 s5, 0, s24
	s_delay_alu instid0(VALU_DEP_1) | instskip(SKIP_2) | instid1(VALU_DEP_1)
	v_rcp_iflag_f32_e32 v3, v3
	s_waitcnt_depctr 0xfff
	v_mul_f32_e32 v3, 0x4f7ffffe, v3
	v_cvt_u32_f32_e32 v3, v3
	s_delay_alu instid0(VALU_DEP_1) | instskip(NEXT) | instid1(VALU_DEP_1)
	v_mul_lo_u32 v10, s5, v3
	v_mul_hi_u32 v10, v3, v10
	s_delay_alu instid0(VALU_DEP_1) | instskip(NEXT) | instid1(VALU_DEP_1)
	v_add_nc_u32_e32 v3, v3, v10
	v_mul_hi_u32 v3, v12, v3
	s_delay_alu instid0(VALU_DEP_1) | instskip(SKIP_1) | instid1(VALU_DEP_2)
	v_mul_lo_u32 v10, v3, s24
	v_add_nc_u32_e32 v11, 1, v3
	v_sub_nc_u32_e32 v10, v12, v10
	s_delay_alu instid0(VALU_DEP_1) | instskip(SKIP_1) | instid1(VALU_DEP_2)
	v_subrev_nc_u32_e32 v12, s24, v10
	v_cmp_le_u32_e32 vcc_lo, s24, v10
	v_dual_cndmask_b32 v10, v10, v12 :: v_dual_cndmask_b32 v3, v3, v11
	s_delay_alu instid0(VALU_DEP_1) | instskip(NEXT) | instid1(VALU_DEP_2)
	v_cmp_le_u32_e32 vcc_lo, s24, v10
	v_add_nc_u32_e32 v11, 1, v3
	s_delay_alu instid0(VALU_DEP_1)
	v_dual_cndmask_b32 v10, v3, v11 :: v_dual_mov_b32 v11, v2
.LBB18_11:                              ;   in Loop: Header=BB18_3 Depth=1
	s_or_b32 exec_lo, exec_lo, s0
	s_delay_alu instid0(VALU_DEP_1) | instskip(SKIP_1) | instid1(VALU_DEP_1)
	v_or_b32_e32 v3, s23, v11
                                        ; implicit-def: $vgpr12_vgpr13
	s_mov_b32 s0, exec_lo
	v_cmpx_ne_u64_e32 0, v[2:3]
	s_xor_b32 s5, exec_lo, s0
	s_cbranch_execz .LBB18_13
; %bb.12:                               ;   in Loop: Header=BB18_3 Depth=1
	s_ashr_i32 s8, s23, 31
	s_delay_alu instid0(SALU_CYCLE_1) | instskip(SKIP_2) | instid1(SALU_CYCLE_1)
	s_add_u32 s10, s22, s8
	s_mov_b32 s9, s8
	s_addc_u32 s11, s23, s8
	s_xor_b64 s[10:11], s[10:11], s[8:9]
	s_delay_alu instid0(SALU_CYCLE_1) | instskip(SKIP_3) | instid1(VALU_DEP_1)
	v_cvt_f32_u32_e32 v3, s10
	v_cvt_f32_u32_e32 v12, s11
	s_sub_u32 s0, 0, s10
	s_subb_u32 s7, 0, s11
	v_fmac_f32_e32 v3, 0x4f800000, v12
	s_delay_alu instid0(VALU_DEP_1) | instskip(SKIP_2) | instid1(VALU_DEP_1)
	v_rcp_f32_e32 v3, v3
	s_waitcnt_depctr 0xfff
	v_mul_f32_e32 v3, 0x5f7ffffc, v3
	v_mul_f32_e32 v12, 0x2f800000, v3
	s_delay_alu instid0(VALU_DEP_1) | instskip(NEXT) | instid1(VALU_DEP_1)
	v_trunc_f32_e32 v12, v12
	v_fmac_f32_e32 v3, 0xcf800000, v12
	v_cvt_u32_f32_e32 v12, v12
	s_delay_alu instid0(VALU_DEP_2) | instskip(NEXT) | instid1(VALU_DEP_2)
	v_cvt_u32_f32_e32 v3, v3
	v_mul_lo_u32 v13, s0, v12
	s_delay_alu instid0(VALU_DEP_2) | instskip(SKIP_1) | instid1(VALU_DEP_2)
	v_mul_hi_u32 v15, s0, v3
	v_mul_lo_u32 v16, s7, v3
	v_add_nc_u32_e32 v13, v15, v13
	v_mul_lo_u32 v15, s0, v3
	s_delay_alu instid0(VALU_DEP_2) | instskip(NEXT) | instid1(VALU_DEP_2)
	v_add_nc_u32_e32 v13, v13, v16
	v_mul_hi_u32 v16, v3, v15
	s_delay_alu instid0(VALU_DEP_2)
	v_mul_lo_u32 v17, v3, v13
	v_mul_hi_u32 v18, v3, v13
	v_mul_hi_u32 v19, v12, v15
	v_mul_lo_u32 v15, v12, v15
	v_mul_hi_u32 v20, v12, v13
	v_mul_lo_u32 v13, v12, v13
	v_add_co_u32 v16, vcc_lo, v16, v17
	v_add_co_ci_u32_e32 v17, vcc_lo, 0, v18, vcc_lo
	s_delay_alu instid0(VALU_DEP_2) | instskip(NEXT) | instid1(VALU_DEP_2)
	v_add_co_u32 v15, vcc_lo, v16, v15
	v_add_co_ci_u32_e32 v15, vcc_lo, v17, v19, vcc_lo
	v_add_co_ci_u32_e32 v16, vcc_lo, 0, v20, vcc_lo
	v_ashrrev_i32_e32 v19, 31, v11
	s_delay_alu instid0(VALU_DEP_3) | instskip(NEXT) | instid1(VALU_DEP_3)
	v_add_co_u32 v13, vcc_lo, v15, v13
	v_add_co_ci_u32_e32 v15, vcc_lo, 0, v16, vcc_lo
	s_delay_alu instid0(VALU_DEP_2) | instskip(NEXT) | instid1(VALU_DEP_2)
	v_add_co_u32 v3, vcc_lo, v3, v13
	v_add_co_ci_u32_e32 v12, vcc_lo, v12, v15, vcc_lo
	s_delay_alu instid0(VALU_DEP_2) | instskip(SKIP_1) | instid1(VALU_DEP_3)
	v_mul_hi_u32 v13, s0, v3
	v_mul_lo_u32 v16, s7, v3
	v_mul_lo_u32 v15, s0, v12
	s_delay_alu instid0(VALU_DEP_1) | instskip(SKIP_1) | instid1(VALU_DEP_2)
	v_add_nc_u32_e32 v13, v13, v15
	v_mul_lo_u32 v15, s0, v3
	v_add_nc_u32_e32 v13, v13, v16
	s_delay_alu instid0(VALU_DEP_2) | instskip(NEXT) | instid1(VALU_DEP_2)
	v_mul_hi_u32 v16, v3, v15
	v_mul_lo_u32 v17, v3, v13
	v_mul_hi_u32 v18, v3, v13
	v_mul_hi_u32 v20, v12, v15
	v_mul_lo_u32 v15, v12, v15
	v_mul_hi_u32 v21, v12, v13
	v_mul_lo_u32 v13, v12, v13
	v_add_co_u32 v16, vcc_lo, v16, v17
	v_add_co_ci_u32_e32 v17, vcc_lo, 0, v18, vcc_lo
	s_delay_alu instid0(VALU_DEP_2) | instskip(NEXT) | instid1(VALU_DEP_2)
	v_add_co_u32 v15, vcc_lo, v16, v15
	v_add_co_ci_u32_e32 v15, vcc_lo, v17, v20, vcc_lo
	v_add_co_ci_u32_e32 v16, vcc_lo, 0, v21, vcc_lo
	v_add_co_u32 v17, vcc_lo, v10, v19
	v_add_co_ci_u32_e32 v11, vcc_lo, v11, v19, vcc_lo
	s_delay_alu instid0(VALU_DEP_4) | instskip(NEXT) | instid1(VALU_DEP_4)
	v_add_co_u32 v13, vcc_lo, v15, v13
	v_add_co_ci_u32_e32 v15, vcc_lo, 0, v16, vcc_lo
	s_delay_alu instid0(VALU_DEP_4) | instskip(NEXT) | instid1(VALU_DEP_3)
	v_xor_b32_e32 v20, v17, v19
	v_add_co_u32 v3, vcc_lo, v3, v13
	s_delay_alu instid0(VALU_DEP_3) | instskip(SKIP_1) | instid1(VALU_DEP_3)
	v_add_co_ci_u32_e32 v13, vcc_lo, v12, v15, vcc_lo
	v_xor_b32_e32 v21, v11, v19
	v_mul_hi_u32 v22, v20, v3
	s_delay_alu instid0(VALU_DEP_3) | instskip(NEXT) | instid1(VALU_DEP_3)
	v_mad_u64_u32 v[11:12], null, v20, v13, 0
	v_mad_u64_u32 v[15:16], null, v21, v3, 0
	;; [unrolled: 1-line block ×3, first 2 shown]
	s_delay_alu instid0(VALU_DEP_3) | instskip(NEXT) | instid1(VALU_DEP_4)
	v_add_co_u32 v3, vcc_lo, v22, v11
	v_add_co_ci_u32_e32 v11, vcc_lo, 0, v12, vcc_lo
	s_delay_alu instid0(VALU_DEP_2) | instskip(NEXT) | instid1(VALU_DEP_2)
	v_add_co_u32 v3, vcc_lo, v3, v15
	v_add_co_ci_u32_e32 v3, vcc_lo, v11, v16, vcc_lo
	v_add_co_ci_u32_e32 v11, vcc_lo, 0, v18, vcc_lo
	s_delay_alu instid0(VALU_DEP_2) | instskip(NEXT) | instid1(VALU_DEP_2)
	v_add_co_u32 v3, vcc_lo, v3, v17
	v_add_co_ci_u32_e32 v13, vcc_lo, 0, v11, vcc_lo
	s_delay_alu instid0(VALU_DEP_2) | instskip(SKIP_1) | instid1(VALU_DEP_3)
	v_mul_lo_u32 v15, s11, v3
	v_mad_u64_u32 v[11:12], null, s10, v3, 0
	v_mul_lo_u32 v13, s10, v13
	s_delay_alu instid0(VALU_DEP_2) | instskip(NEXT) | instid1(VALU_DEP_2)
	v_sub_co_u32 v11, vcc_lo, v20, v11
	v_add3_u32 v12, v12, v13, v15
	v_add_co_u32 v15, s0, v3, 2
	s_delay_alu instid0(VALU_DEP_2) | instskip(NEXT) | instid1(VALU_DEP_1)
	v_sub_nc_u32_e32 v13, v21, v12
	v_subrev_co_ci_u32_e64 v13, s0, s11, v13, vcc_lo
	v_sub_co_u32 v16, s0, v11, s10
	v_sub_co_ci_u32_e32 v12, vcc_lo, v21, v12, vcc_lo
	s_delay_alu instid0(VALU_DEP_3) | instskip(NEXT) | instid1(VALU_DEP_3)
	v_subrev_co_ci_u32_e64 v13, s0, 0, v13, s0
	v_cmp_le_u32_e32 vcc_lo, s10, v16
	v_cndmask_b32_e64 v16, 0, -1, vcc_lo
	s_delay_alu instid0(VALU_DEP_3)
	v_cmp_le_u32_e32 vcc_lo, s11, v13
	v_cndmask_b32_e64 v17, 0, -1, vcc_lo
	v_cmp_le_u32_e32 vcc_lo, s10, v11
	v_cndmask_b32_e64 v11, 0, -1, vcc_lo
	;; [unrolled: 2-line block ×3, first 2 shown]
	v_cmp_eq_u32_e32 vcc_lo, s11, v13
	v_cndmask_b32_e32 v13, v17, v16, vcc_lo
	v_add_co_u32 v16, vcc_lo, v3, 1
	v_cmp_eq_u32_e32 vcc_lo, s11, v12
	v_cndmask_b32_e32 v11, v18, v11, vcc_lo
	s_delay_alu instid0(VALU_DEP_4) | instskip(NEXT) | instid1(VALU_DEP_4)
	v_cmp_ne_u32_e32 vcc_lo, 0, v13
	v_cndmask_b32_e32 v12, v16, v15, vcc_lo
	s_delay_alu instid0(VALU_DEP_3) | instskip(SKIP_1) | instid1(VALU_DEP_3)
	v_cmp_ne_u32_e32 vcc_lo, 0, v11
	v_xor_b32_e32 v11, s8, v19
	v_cndmask_b32_e32 v3, v3, v12, vcc_lo
	s_delay_alu instid0(VALU_DEP_1) | instskip(NEXT) | instid1(VALU_DEP_1)
	v_xor_b32_e32 v3, v3, v11
	v_sub_co_u32 v12, vcc_lo, v3, v11
.LBB18_13:                              ;   in Loop: Header=BB18_3 Depth=1
	s_and_not1_saveexec_b32 s0, s5
	s_cbranch_execz .LBB18_2
; %bb.14:                               ;   in Loop: Header=BB18_3 Depth=1
	v_cvt_f32_u32_e32 v3, s22
	s_sub_i32 s5, 0, s22
	s_delay_alu instid0(VALU_DEP_1) | instskip(SKIP_2) | instid1(VALU_DEP_1)
	v_rcp_iflag_f32_e32 v3, v3
	s_waitcnt_depctr 0xfff
	v_mul_f32_e32 v3, 0x4f7ffffe, v3
	v_cvt_u32_f32_e32 v3, v3
	s_delay_alu instid0(VALU_DEP_1) | instskip(NEXT) | instid1(VALU_DEP_1)
	v_mul_lo_u32 v11, s5, v3
	v_mul_hi_u32 v11, v3, v11
	s_delay_alu instid0(VALU_DEP_1) | instskip(NEXT) | instid1(VALU_DEP_1)
	v_add_nc_u32_e32 v3, v3, v11
	v_mul_hi_u32 v3, v10, v3
	s_delay_alu instid0(VALU_DEP_1) | instskip(NEXT) | instid1(VALU_DEP_1)
	v_mul_lo_u32 v11, v3, s22
	v_sub_nc_u32_e32 v11, v10, v11
	s_delay_alu instid0(VALU_DEP_1) | instskip(SKIP_1) | instid1(VALU_DEP_2)
	v_subrev_nc_u32_e32 v13, s22, v11
	v_cmp_le_u32_e32 vcc_lo, s22, v11
	v_dual_cndmask_b32 v11, v11, v13 :: v_dual_add_nc_u32 v12, 1, v3
	s_delay_alu instid0(VALU_DEP_1) | instskip(NEXT) | instid1(VALU_DEP_2)
	v_cndmask_b32_e32 v3, v3, v12, vcc_lo
	v_cmp_le_u32_e32 vcc_lo, s22, v11
	s_delay_alu instid0(VALU_DEP_2) | instskip(NEXT) | instid1(VALU_DEP_1)
	v_add_nc_u32_e32 v12, 1, v3
	v_cndmask_b32_e32 v12, v3, v12, vcc_lo
	s_branch .LBB18_2
.LBB18_15:
	s_nop 0
	s_sendmsg sendmsg(MSG_DEALLOC_VGPRS)
	s_endpgm
	.section	.rodata,"a",@progbits
	.p2align	6, 0x0
	.amdhsa_kernel _ZN2at6native31max_unpooling2d_backward_kernelIhEEvlPKT_PKllllllPS2_
		.amdhsa_group_segment_fixed_size 0
		.amdhsa_private_segment_fixed_size 0
		.amdhsa_kernarg_size 328
		.amdhsa_user_sgpr_count 15
		.amdhsa_user_sgpr_dispatch_ptr 0
		.amdhsa_user_sgpr_queue_ptr 0
		.amdhsa_user_sgpr_kernarg_segment_ptr 1
		.amdhsa_user_sgpr_dispatch_id 0
		.amdhsa_user_sgpr_private_segment_size 0
		.amdhsa_wavefront_size32 1
		.amdhsa_uses_dynamic_stack 0
		.amdhsa_enable_private_segment 0
		.amdhsa_system_sgpr_workgroup_id_x 1
		.amdhsa_system_sgpr_workgroup_id_y 0
		.amdhsa_system_sgpr_workgroup_id_z 0
		.amdhsa_system_sgpr_workgroup_info 0
		.amdhsa_system_vgpr_workitem_id 0
		.amdhsa_next_free_vgpr 23
		.amdhsa_next_free_sgpr 32
		.amdhsa_reserve_vcc 1
		.amdhsa_float_round_mode_32 0
		.amdhsa_float_round_mode_16_64 0
		.amdhsa_float_denorm_mode_32 3
		.amdhsa_float_denorm_mode_16_64 3
		.amdhsa_dx10_clamp 1
		.amdhsa_ieee_mode 1
		.amdhsa_fp16_overflow 0
		.amdhsa_workgroup_processor_mode 1
		.amdhsa_memory_ordered 1
		.amdhsa_forward_progress 0
		.amdhsa_shared_vgpr_count 0
		.amdhsa_exception_fp_ieee_invalid_op 0
		.amdhsa_exception_fp_denorm_src 0
		.amdhsa_exception_fp_ieee_div_zero 0
		.amdhsa_exception_fp_ieee_overflow 0
		.amdhsa_exception_fp_ieee_underflow 0
		.amdhsa_exception_fp_ieee_inexact 0
		.amdhsa_exception_int_div_zero 0
	.end_amdhsa_kernel
	.section	.text._ZN2at6native31max_unpooling2d_backward_kernelIhEEvlPKT_PKllllllPS2_,"axG",@progbits,_ZN2at6native31max_unpooling2d_backward_kernelIhEEvlPKT_PKllllllPS2_,comdat
.Lfunc_end18:
	.size	_ZN2at6native31max_unpooling2d_backward_kernelIhEEvlPKT_PKllllllPS2_, .Lfunc_end18-_ZN2at6native31max_unpooling2d_backward_kernelIhEEvlPKT_PKllllllPS2_
                                        ; -- End function
	.section	.AMDGPU.csdata,"",@progbits
; Kernel info:
; codeLenInByte = 3360
; NumSgprs: 34
; NumVgprs: 23
; ScratchSize: 0
; MemoryBound: 0
; FloatMode: 240
; IeeeMode: 1
; LDSByteSize: 0 bytes/workgroup (compile time only)
; SGPRBlocks: 4
; VGPRBlocks: 2
; NumSGPRsForWavesPerEU: 34
; NumVGPRsForWavesPerEU: 23
; Occupancy: 16
; WaveLimiterHint : 1
; COMPUTE_PGM_RSRC2:SCRATCH_EN: 0
; COMPUTE_PGM_RSRC2:USER_SGPR: 15
; COMPUTE_PGM_RSRC2:TRAP_HANDLER: 0
; COMPUTE_PGM_RSRC2:TGID_X_EN: 1
; COMPUTE_PGM_RSRC2:TGID_Y_EN: 0
; COMPUTE_PGM_RSRC2:TGID_Z_EN: 0
; COMPUTE_PGM_RSRC2:TIDIG_COMP_CNT: 0
	.section	.text._ZN2at6native31max_unpooling2d_backward_kernelIaEEvlPKT_PKllllllPS2_,"axG",@progbits,_ZN2at6native31max_unpooling2d_backward_kernelIaEEvlPKT_PKllllllPS2_,comdat
	.protected	_ZN2at6native31max_unpooling2d_backward_kernelIaEEvlPKT_PKllllllPS2_ ; -- Begin function _ZN2at6native31max_unpooling2d_backward_kernelIaEEvlPKT_PKllllllPS2_
	.globl	_ZN2at6native31max_unpooling2d_backward_kernelIaEEvlPKT_PKllllllPS2_
	.p2align	8
	.type	_ZN2at6native31max_unpooling2d_backward_kernelIaEEvlPKT_PKllllllPS2_,@function
_ZN2at6native31max_unpooling2d_backward_kernelIaEEvlPKT_PKllllllPS2_: ; @_ZN2at6native31max_unpooling2d_backward_kernelIaEEvlPKT_PKllllllPS2_
; %bb.0:
	s_clause 0x1
	s_load_b32 s4, s[0:1], 0x54
	s_load_b512 s[16:31], s[0:1], 0x0
	v_mov_b32_e32 v2, 0
	s_add_u32 s2, s0, 0x48
	s_addc_u32 s3, s1, 0
	s_mov_b32 s5, exec_lo
	s_delay_alu instid0(VALU_DEP_1)
	v_mov_b32_e32 v1, v2
	s_waitcnt lgkmcnt(0)
	s_and_b32 s4, s4, 0xffff
	s_delay_alu instid0(VALU_DEP_1) | instid1(SALU_CYCLE_1)
	v_mad_u64_u32 v[4:5], null, s4, s15, v[0:1]
	s_delay_alu instid0(VALU_DEP_1)
	v_cmpx_gt_i64_e64 s[16:17], v[4:5]
	s_cbranch_execz .LBB19_15
; %bb.1:
	v_cvt_f32_u32_e32 v0, s26
	s_load_b32 s5, s[2:3], 0x0
	s_sub_i32 s2, 0, s26
	s_mul_hi_u32 s6, s30, s28
	v_dual_mov_b32 v6, s18 :: v_dual_mov_b32 v7, s19
	v_rcp_iflag_f32_e32 v0, v0
	s_mul_i32 s7, s31, s28
	s_mov_b32 s12, 0
	s_waitcnt_depctr 0xfff
	v_dual_mov_b32 v3, v4 :: v_dual_mul_f32 v0, 0x4f7ffffe, v0
	s_delay_alu instid0(VALU_DEP_1)
	v_cvt_u32_f32_e32 v0, v0
	s_waitcnt lgkmcnt(0)
	s_mul_i32 s14, s5, s4
	s_ashr_i32 s4, s27, 31
	s_mov_b32 s15, s14
	v_mul_lo_u32 v1, s2, v0
	s_load_b64 s[2:3], s[0:1], 0x40
	s_mul_i32 s0, s30, s29
	s_mul_i32 s1, s30, s28
	s_add_i32 s0, s6, s0
	s_ashr_i32 s6, s25, 31
	s_add_i32 s13, s0, s7
	s_delay_alu instid0(VALU_DEP_1) | instskip(NEXT) | instid1(VALU_DEP_1)
	v_mul_hi_u32 v1, v0, v1
	v_add_nc_u32_e32 v14, v0, v1
	v_dual_mov_b32 v0, v2 :: v_dual_mov_b32 v1, v3
	s_branch .LBB19_3
.LBB19_2:                               ;   in Loop: Header=BB19_3 Depth=1
	s_or_b32 exec_lo, exec_lo, s0
	v_lshlrev_b64 v[15:16], 3, v[8:9]
	s_delay_alu instid0(VALU_DEP_2) | instskip(SKIP_2) | instid1(VALU_DEP_1)
	v_mul_lo_u32 v11, v12, s22
	v_ashrrev_i32_e32 v13, 31, v12
	v_add_co_u32 v0, s0, v0, 0
	v_add_co_ci_u32_e64 v1, s0, s15, v1, s0
	v_add_co_u32 v15, vcc_lo, s20, v15
	v_add_co_ci_u32_e32 v16, vcc_lo, s21, v16, vcc_lo
	v_sub_nc_u32_e32 v10, v10, v11
	global_load_b32 v3, v[15:16], off
	v_ashrrev_i32_e32 v11, 31, v10
	s_delay_alu instid0(VALU_DEP_1) | instskip(SKIP_2) | instid1(VALU_DEP_3)
	v_mad_u64_u32 v[15:16], null, v12, s22, v[10:11]
	v_mul_lo_u32 v10, v12, s23
	v_mul_lo_u32 v11, v13, s22
	;; [unrolled: 1-line block ×3, first 2 shown]
	s_delay_alu instid0(VALU_DEP_2) | instskip(NEXT) | instid1(VALU_DEP_1)
	v_add3_u32 v10, v11, v16, v10
	v_mul_lo_u32 v13, s1, v10
	v_mad_u64_u32 v[10:11], null, s1, v15, v[6:7]
	s_delay_alu instid0(VALU_DEP_1) | instskip(SKIP_2) | instid1(VALU_DEP_3)
	v_add3_u32 v11, v12, v11, v13
	s_waitcnt vmcnt(0)
	v_ashrrev_i32_e32 v7, 31, v3
	v_add_co_u32 v6, vcc_lo, v10, v3
	s_delay_alu instid0(VALU_DEP_2)
	v_add_co_ci_u32_e32 v7, vcc_lo, v11, v7, vcc_lo
	v_add_co_u32 v4, vcc_lo, v4, s14
	v_add_co_ci_u32_e32 v5, vcc_lo, 0, v5, vcc_lo
	global_load_u8 v3, v[6:7], off
	s_waitcnt lgkmcnt(0)
	v_add_co_u32 v8, vcc_lo, s2, v8
	v_add_co_ci_u32_e32 v9, vcc_lo, s3, v9, vcc_lo
	v_cmp_le_i64_e32 vcc_lo, s[16:17], v[4:5]
	v_dual_mov_b32 v6, v10 :: v_dual_mov_b32 v7, v11
	s_or_b32 s12, vcc_lo, s12
	s_waitcnt vmcnt(0)
	global_store_b8 v[8:9], v3, off
	s_and_not1_b32 exec_lo, exec_lo, s12
	s_cbranch_execz .LBB19_15
.LBB19_3:                               ; =>This Inner Loop Header: Depth=1
	s_delay_alu instid0(VALU_DEP_1) | instskip(SKIP_2) | instid1(VALU_DEP_2)
	v_ashrrev_i32_e32 v9, 31, v1
	v_mov_b32_e32 v8, v1
                                        ; implicit-def: $vgpr12_vgpr13
	s_mov_b32 s0, exec_lo
	v_or_b32_e32 v3, s27, v9
	s_delay_alu instid0(VALU_DEP_1)
	v_cmpx_ne_u64_e32 0, v[2:3]
	s_xor_b32 s7, exec_lo, s0
	s_cbranch_execz .LBB19_5
; %bb.4:                                ;   in Loop: Header=BB19_3 Depth=1
	s_add_u32 s8, s26, s4
	s_mov_b32 s5, s4
	s_addc_u32 s9, s27, s4
	s_delay_alu instid0(SALU_CYCLE_1) | instskip(NEXT) | instid1(SALU_CYCLE_1)
	s_xor_b64 s[8:9], s[8:9], s[4:5]
	v_cvt_f32_u32_e32 v3, s8
	v_cvt_f32_u32_e32 v10, s9
	s_sub_u32 s0, 0, s8
	s_subb_u32 s5, 0, s9
	s_delay_alu instid0(VALU_DEP_1) | instskip(NEXT) | instid1(VALU_DEP_1)
	v_fmac_f32_e32 v3, 0x4f800000, v10
	v_rcp_f32_e32 v3, v3
	s_waitcnt_depctr 0xfff
	v_mul_f32_e32 v3, 0x5f7ffffc, v3
	s_delay_alu instid0(VALU_DEP_1) | instskip(NEXT) | instid1(VALU_DEP_1)
	v_mul_f32_e32 v10, 0x2f800000, v3
	v_trunc_f32_e32 v10, v10
	s_delay_alu instid0(VALU_DEP_1) | instskip(SKIP_1) | instid1(VALU_DEP_2)
	v_fmac_f32_e32 v3, 0xcf800000, v10
	v_cvt_u32_f32_e32 v10, v10
	v_cvt_u32_f32_e32 v3, v3
	s_delay_alu instid0(VALU_DEP_2) | instskip(NEXT) | instid1(VALU_DEP_2)
	v_mul_lo_u32 v11, s0, v10
	v_mul_hi_u32 v12, s0, v3
	v_mul_lo_u32 v13, s5, v3
	s_delay_alu instid0(VALU_DEP_2) | instskip(SKIP_1) | instid1(VALU_DEP_2)
	v_add_nc_u32_e32 v11, v12, v11
	v_mul_lo_u32 v12, s0, v3
	v_add_nc_u32_e32 v11, v11, v13
	s_delay_alu instid0(VALU_DEP_2) | instskip(NEXT) | instid1(VALU_DEP_2)
	v_mul_hi_u32 v13, v3, v12
	v_mul_lo_u32 v15, v3, v11
	v_mul_hi_u32 v16, v3, v11
	v_mul_hi_u32 v17, v10, v12
	v_mul_lo_u32 v12, v10, v12
	v_mul_hi_u32 v18, v10, v11
	v_mul_lo_u32 v11, v10, v11
	v_add_co_u32 v13, vcc_lo, v13, v15
	v_add_co_ci_u32_e32 v15, vcc_lo, 0, v16, vcc_lo
	s_delay_alu instid0(VALU_DEP_2) | instskip(NEXT) | instid1(VALU_DEP_2)
	v_add_co_u32 v12, vcc_lo, v13, v12
	v_add_co_ci_u32_e32 v12, vcc_lo, v15, v17, vcc_lo
	v_add_co_ci_u32_e32 v13, vcc_lo, 0, v18, vcc_lo
	v_ashrrev_i32_e32 v17, 31, v9
	s_delay_alu instid0(VALU_DEP_3) | instskip(NEXT) | instid1(VALU_DEP_3)
	v_add_co_u32 v11, vcc_lo, v12, v11
	v_add_co_ci_u32_e32 v12, vcc_lo, 0, v13, vcc_lo
	s_delay_alu instid0(VALU_DEP_2) | instskip(NEXT) | instid1(VALU_DEP_2)
	v_add_co_u32 v3, vcc_lo, v3, v11
	v_add_co_ci_u32_e32 v10, vcc_lo, v10, v12, vcc_lo
	s_delay_alu instid0(VALU_DEP_2) | instskip(SKIP_1) | instid1(VALU_DEP_3)
	v_mul_hi_u32 v11, s0, v3
	v_mul_lo_u32 v13, s5, v3
	v_mul_lo_u32 v12, s0, v10
	s_delay_alu instid0(VALU_DEP_1) | instskip(SKIP_1) | instid1(VALU_DEP_2)
	v_add_nc_u32_e32 v11, v11, v12
	v_mul_lo_u32 v12, s0, v3
	v_add_nc_u32_e32 v11, v11, v13
	s_delay_alu instid0(VALU_DEP_2) | instskip(NEXT) | instid1(VALU_DEP_2)
	v_mul_hi_u32 v13, v3, v12
	v_mul_lo_u32 v15, v3, v11
	v_mul_hi_u32 v16, v3, v11
	v_mul_hi_u32 v18, v10, v12
	v_mul_lo_u32 v12, v10, v12
	v_mul_hi_u32 v19, v10, v11
	v_mul_lo_u32 v11, v10, v11
	v_add_co_u32 v13, vcc_lo, v13, v15
	v_add_co_ci_u32_e32 v15, vcc_lo, 0, v16, vcc_lo
	s_delay_alu instid0(VALU_DEP_2) | instskip(NEXT) | instid1(VALU_DEP_2)
	v_add_co_u32 v12, vcc_lo, v13, v12
	v_add_co_ci_u32_e32 v12, vcc_lo, v15, v18, vcc_lo
	v_add_co_ci_u32_e32 v13, vcc_lo, 0, v19, vcc_lo
	v_add_co_u32 v15, vcc_lo, v8, v17
	v_add_co_ci_u32_e32 v16, vcc_lo, v9, v17, vcc_lo
	s_delay_alu instid0(VALU_DEP_4) | instskip(NEXT) | instid1(VALU_DEP_4)
	v_add_co_u32 v11, vcc_lo, v12, v11
	v_add_co_ci_u32_e32 v12, vcc_lo, 0, v13, vcc_lo
	s_delay_alu instid0(VALU_DEP_4) | instskip(NEXT) | instid1(VALU_DEP_3)
	v_xor_b32_e32 v18, v15, v17
	v_add_co_u32 v3, vcc_lo, v3, v11
	s_delay_alu instid0(VALU_DEP_3) | instskip(SKIP_1) | instid1(VALU_DEP_3)
	v_add_co_ci_u32_e32 v19, vcc_lo, v10, v12, vcc_lo
	v_xor_b32_e32 v20, v16, v17
	v_mul_hi_u32 v21, v18, v3
	s_delay_alu instid0(VALU_DEP_3) | instskip(NEXT) | instid1(VALU_DEP_3)
	v_mad_u64_u32 v[10:11], null, v18, v19, 0
	v_mad_u64_u32 v[12:13], null, v20, v3, 0
	;; [unrolled: 1-line block ×3, first 2 shown]
	s_delay_alu instid0(VALU_DEP_3) | instskip(NEXT) | instid1(VALU_DEP_4)
	v_add_co_u32 v3, vcc_lo, v21, v10
	v_add_co_ci_u32_e32 v10, vcc_lo, 0, v11, vcc_lo
	s_delay_alu instid0(VALU_DEP_2) | instskip(NEXT) | instid1(VALU_DEP_2)
	v_add_co_u32 v3, vcc_lo, v3, v12
	v_add_co_ci_u32_e32 v3, vcc_lo, v10, v13, vcc_lo
	v_add_co_ci_u32_e32 v10, vcc_lo, 0, v16, vcc_lo
	s_delay_alu instid0(VALU_DEP_2) | instskip(NEXT) | instid1(VALU_DEP_2)
	v_add_co_u32 v3, vcc_lo, v3, v15
	v_add_co_ci_u32_e32 v12, vcc_lo, 0, v10, vcc_lo
	s_delay_alu instid0(VALU_DEP_2) | instskip(SKIP_1) | instid1(VALU_DEP_3)
	v_mul_lo_u32 v13, s9, v3
	v_mad_u64_u32 v[10:11], null, s8, v3, 0
	v_mul_lo_u32 v15, s8, v12
	s_delay_alu instid0(VALU_DEP_2) | instskip(NEXT) | instid1(VALU_DEP_2)
	v_sub_co_u32 v10, vcc_lo, v18, v10
	v_add3_u32 v11, v11, v15, v13
	s_delay_alu instid0(VALU_DEP_1) | instskip(NEXT) | instid1(VALU_DEP_1)
	v_sub_nc_u32_e32 v13, v20, v11
	v_subrev_co_ci_u32_e64 v13, s0, s9, v13, vcc_lo
	v_add_co_u32 v15, s0, v3, 2
	s_delay_alu instid0(VALU_DEP_1) | instskip(SKIP_3) | instid1(VALU_DEP_3)
	v_add_co_ci_u32_e64 v16, s0, 0, v12, s0
	v_sub_co_u32 v18, s0, v10, s8
	v_sub_co_ci_u32_e32 v11, vcc_lo, v20, v11, vcc_lo
	v_subrev_co_ci_u32_e64 v13, s0, 0, v13, s0
	v_cmp_le_u32_e32 vcc_lo, s8, v18
	s_delay_alu instid0(VALU_DEP_3) | instskip(SKIP_1) | instid1(VALU_DEP_4)
	v_cmp_eq_u32_e64 s0, s9, v11
	v_cndmask_b32_e64 v18, 0, -1, vcc_lo
	v_cmp_le_u32_e32 vcc_lo, s9, v13
	v_cndmask_b32_e64 v19, 0, -1, vcc_lo
	v_cmp_le_u32_e32 vcc_lo, s8, v10
	;; [unrolled: 2-line block ×3, first 2 shown]
	v_cndmask_b32_e64 v20, 0, -1, vcc_lo
	v_cmp_eq_u32_e32 vcc_lo, s9, v13
	s_delay_alu instid0(VALU_DEP_2) | instskip(SKIP_3) | instid1(VALU_DEP_3)
	v_cndmask_b32_e64 v10, v20, v10, s0
	v_cndmask_b32_e32 v13, v19, v18, vcc_lo
	v_add_co_u32 v18, vcc_lo, v3, 1
	v_add_co_ci_u32_e32 v19, vcc_lo, 0, v12, vcc_lo
	v_cmp_ne_u32_e32 vcc_lo, 0, v13
	s_delay_alu instid0(VALU_DEP_2) | instskip(NEXT) | instid1(VALU_DEP_4)
	v_cndmask_b32_e32 v11, v19, v16, vcc_lo
	v_cndmask_b32_e32 v13, v18, v15, vcc_lo
	v_cmp_ne_u32_e32 vcc_lo, 0, v10
	v_xor_b32_e32 v10, s4, v17
	s_delay_alu instid0(VALU_DEP_3) | instskip(SKIP_1) | instid1(VALU_DEP_2)
	v_cndmask_b32_e32 v3, v3, v13, vcc_lo
	v_cndmask_b32_e32 v11, v12, v11, vcc_lo
	v_xor_b32_e32 v3, v3, v10
	s_delay_alu instid0(VALU_DEP_2) | instskip(NEXT) | instid1(VALU_DEP_2)
	v_xor_b32_e32 v11, v11, v10
	v_sub_co_u32 v12, vcc_lo, v3, v10
	s_delay_alu instid0(VALU_DEP_2)
	v_sub_co_ci_u32_e32 v13, vcc_lo, v11, v10, vcc_lo
.LBB19_5:                               ;   in Loop: Header=BB19_3 Depth=1
	s_and_not1_saveexec_b32 s0, s7
; %bb.6:                                ;   in Loop: Header=BB19_3 Depth=1
	v_mul_hi_u32 v3, v1, v14
	v_mov_b32_e32 v13, v2
	s_delay_alu instid0(VALU_DEP_2) | instskip(NEXT) | instid1(VALU_DEP_1)
	v_mul_lo_u32 v10, v3, s26
	v_sub_nc_u32_e32 v10, v1, v10
	s_delay_alu instid0(VALU_DEP_1) | instskip(SKIP_1) | instid1(VALU_DEP_2)
	v_subrev_nc_u32_e32 v12, s26, v10
	v_cmp_le_u32_e32 vcc_lo, s26, v10
	v_dual_cndmask_b32 v10, v10, v12 :: v_dual_add_nc_u32 v11, 1, v3
	s_delay_alu instid0(VALU_DEP_1) | instskip(NEXT) | instid1(VALU_DEP_2)
	v_cndmask_b32_e32 v3, v3, v11, vcc_lo
	v_cmp_le_u32_e32 vcc_lo, s26, v10
	s_delay_alu instid0(VALU_DEP_2) | instskip(NEXT) | instid1(VALU_DEP_1)
	v_add_nc_u32_e32 v11, 1, v3
	v_cndmask_b32_e32 v12, v3, v11, vcc_lo
; %bb.7:                                ;   in Loop: Header=BB19_3 Depth=1
	s_or_b32 exec_lo, exec_lo, s0
	v_or_b32_e32 v3, s25, v13
                                        ; implicit-def: $vgpr10_vgpr11
	s_mov_b32 s0, exec_lo
	s_delay_alu instid0(VALU_DEP_1)
	v_cmpx_ne_u64_e32 0, v[2:3]
	s_xor_b32 s5, exec_lo, s0
	s_cbranch_execz .LBB19_9
; %bb.8:                                ;   in Loop: Header=BB19_3 Depth=1
	s_add_u32 s8, s24, s6
	s_mov_b32 s7, s6
	s_addc_u32 s9, s25, s6
	s_delay_alu instid0(SALU_CYCLE_1) | instskip(NEXT) | instid1(SALU_CYCLE_1)
	s_xor_b64 s[8:9], s[8:9], s[6:7]
	v_cvt_f32_u32_e32 v3, s8
	v_cvt_f32_u32_e32 v10, s9
	s_sub_u32 s0, 0, s8
	s_subb_u32 s7, 0, s9
	s_delay_alu instid0(VALU_DEP_1) | instskip(NEXT) | instid1(VALU_DEP_1)
	v_fmac_f32_e32 v3, 0x4f800000, v10
	v_rcp_f32_e32 v3, v3
	s_waitcnt_depctr 0xfff
	v_mul_f32_e32 v3, 0x5f7ffffc, v3
	s_delay_alu instid0(VALU_DEP_1) | instskip(NEXT) | instid1(VALU_DEP_1)
	v_mul_f32_e32 v10, 0x2f800000, v3
	v_trunc_f32_e32 v10, v10
	s_delay_alu instid0(VALU_DEP_1) | instskip(SKIP_1) | instid1(VALU_DEP_2)
	v_fmac_f32_e32 v3, 0xcf800000, v10
	v_cvt_u32_f32_e32 v10, v10
	v_cvt_u32_f32_e32 v3, v3
	s_delay_alu instid0(VALU_DEP_2) | instskip(NEXT) | instid1(VALU_DEP_2)
	v_mul_lo_u32 v11, s0, v10
	v_mul_hi_u32 v15, s0, v3
	v_mul_lo_u32 v16, s7, v3
	s_delay_alu instid0(VALU_DEP_2) | instskip(SKIP_1) | instid1(VALU_DEP_2)
	v_add_nc_u32_e32 v11, v15, v11
	v_mul_lo_u32 v15, s0, v3
	v_add_nc_u32_e32 v11, v11, v16
	s_delay_alu instid0(VALU_DEP_2) | instskip(NEXT) | instid1(VALU_DEP_2)
	v_mul_hi_u32 v16, v3, v15
	v_mul_lo_u32 v17, v3, v11
	v_mul_hi_u32 v18, v3, v11
	v_mul_hi_u32 v19, v10, v15
	v_mul_lo_u32 v15, v10, v15
	v_mul_hi_u32 v20, v10, v11
	v_mul_lo_u32 v11, v10, v11
	v_add_co_u32 v16, vcc_lo, v16, v17
	v_add_co_ci_u32_e32 v17, vcc_lo, 0, v18, vcc_lo
	s_delay_alu instid0(VALU_DEP_2) | instskip(NEXT) | instid1(VALU_DEP_2)
	v_add_co_u32 v15, vcc_lo, v16, v15
	v_add_co_ci_u32_e32 v15, vcc_lo, v17, v19, vcc_lo
	v_add_co_ci_u32_e32 v16, vcc_lo, 0, v20, vcc_lo
	v_ashrrev_i32_e32 v19, 31, v13
	s_delay_alu instid0(VALU_DEP_3) | instskip(NEXT) | instid1(VALU_DEP_3)
	v_add_co_u32 v11, vcc_lo, v15, v11
	v_add_co_ci_u32_e32 v15, vcc_lo, 0, v16, vcc_lo
	s_delay_alu instid0(VALU_DEP_2) | instskip(NEXT) | instid1(VALU_DEP_2)
	v_add_co_u32 v3, vcc_lo, v3, v11
	v_add_co_ci_u32_e32 v10, vcc_lo, v10, v15, vcc_lo
	s_delay_alu instid0(VALU_DEP_2) | instskip(SKIP_1) | instid1(VALU_DEP_3)
	v_mul_hi_u32 v11, s0, v3
	v_mul_lo_u32 v16, s7, v3
	v_mul_lo_u32 v15, s0, v10
	s_delay_alu instid0(VALU_DEP_1) | instskip(SKIP_1) | instid1(VALU_DEP_2)
	v_add_nc_u32_e32 v11, v11, v15
	v_mul_lo_u32 v15, s0, v3
	v_add_nc_u32_e32 v11, v11, v16
	s_delay_alu instid0(VALU_DEP_2) | instskip(NEXT) | instid1(VALU_DEP_2)
	v_mul_hi_u32 v16, v3, v15
	v_mul_lo_u32 v17, v3, v11
	v_mul_hi_u32 v18, v3, v11
	v_mul_hi_u32 v20, v10, v15
	v_mul_lo_u32 v15, v10, v15
	v_mul_hi_u32 v21, v10, v11
	v_mul_lo_u32 v11, v10, v11
	v_add_co_u32 v16, vcc_lo, v16, v17
	v_add_co_ci_u32_e32 v17, vcc_lo, 0, v18, vcc_lo
	s_delay_alu instid0(VALU_DEP_2) | instskip(NEXT) | instid1(VALU_DEP_2)
	v_add_co_u32 v15, vcc_lo, v16, v15
	v_add_co_ci_u32_e32 v15, vcc_lo, v17, v20, vcc_lo
	v_add_co_ci_u32_e32 v16, vcc_lo, 0, v21, vcc_lo
	v_add_co_u32 v12, vcc_lo, v12, v19
	v_add_co_ci_u32_e32 v13, vcc_lo, v13, v19, vcc_lo
	s_delay_alu instid0(VALU_DEP_4) | instskip(NEXT) | instid1(VALU_DEP_4)
	v_add_co_u32 v11, vcc_lo, v15, v11
	v_add_co_ci_u32_e32 v15, vcc_lo, 0, v16, vcc_lo
	s_delay_alu instid0(VALU_DEP_4) | instskip(NEXT) | instid1(VALU_DEP_3)
	v_xor_b32_e32 v17, v12, v19
	v_add_co_u32 v3, vcc_lo, v3, v11
	s_delay_alu instid0(VALU_DEP_3) | instskip(SKIP_1) | instid1(VALU_DEP_3)
	v_add_co_ci_u32_e32 v18, vcc_lo, v10, v15, vcc_lo
	v_xor_b32_e32 v20, v13, v19
	v_mul_hi_u32 v21, v17, v3
	s_delay_alu instid0(VALU_DEP_3) | instskip(NEXT) | instid1(VALU_DEP_3)
	v_mad_u64_u32 v[10:11], null, v17, v18, 0
	v_mad_u64_u32 v[12:13], null, v20, v3, 0
	;; [unrolled: 1-line block ×3, first 2 shown]
	s_delay_alu instid0(VALU_DEP_3) | instskip(NEXT) | instid1(VALU_DEP_4)
	v_add_co_u32 v3, vcc_lo, v21, v10
	v_add_co_ci_u32_e32 v10, vcc_lo, 0, v11, vcc_lo
	s_delay_alu instid0(VALU_DEP_2) | instskip(NEXT) | instid1(VALU_DEP_2)
	v_add_co_u32 v3, vcc_lo, v3, v12
	v_add_co_ci_u32_e32 v3, vcc_lo, v10, v13, vcc_lo
	v_add_co_ci_u32_e32 v10, vcc_lo, 0, v16, vcc_lo
	s_delay_alu instid0(VALU_DEP_2) | instskip(NEXT) | instid1(VALU_DEP_2)
	v_add_co_u32 v3, vcc_lo, v3, v15
	v_add_co_ci_u32_e32 v12, vcc_lo, 0, v10, vcc_lo
	s_delay_alu instid0(VALU_DEP_2) | instskip(SKIP_1) | instid1(VALU_DEP_3)
	v_mul_lo_u32 v13, s9, v3
	v_mad_u64_u32 v[10:11], null, s8, v3, 0
	v_mul_lo_u32 v15, s8, v12
	s_delay_alu instid0(VALU_DEP_2) | instskip(NEXT) | instid1(VALU_DEP_2)
	v_sub_co_u32 v10, vcc_lo, v17, v10
	v_add3_u32 v11, v11, v15, v13
	s_delay_alu instid0(VALU_DEP_1) | instskip(NEXT) | instid1(VALU_DEP_1)
	v_sub_nc_u32_e32 v13, v20, v11
	v_subrev_co_ci_u32_e64 v13, s0, s9, v13, vcc_lo
	v_add_co_u32 v15, s0, v3, 2
	s_delay_alu instid0(VALU_DEP_1) | instskip(SKIP_3) | instid1(VALU_DEP_3)
	v_add_co_ci_u32_e64 v16, s0, 0, v12, s0
	v_sub_co_u32 v17, s0, v10, s8
	v_sub_co_ci_u32_e32 v11, vcc_lo, v20, v11, vcc_lo
	v_subrev_co_ci_u32_e64 v13, s0, 0, v13, s0
	v_cmp_le_u32_e32 vcc_lo, s8, v17
	s_delay_alu instid0(VALU_DEP_3) | instskip(SKIP_1) | instid1(VALU_DEP_4)
	v_cmp_eq_u32_e64 s0, s9, v11
	v_cndmask_b32_e64 v17, 0, -1, vcc_lo
	v_cmp_le_u32_e32 vcc_lo, s9, v13
	v_cndmask_b32_e64 v18, 0, -1, vcc_lo
	v_cmp_le_u32_e32 vcc_lo, s8, v10
	;; [unrolled: 2-line block ×3, first 2 shown]
	v_cndmask_b32_e64 v20, 0, -1, vcc_lo
	v_cmp_eq_u32_e32 vcc_lo, s9, v13
	s_delay_alu instid0(VALU_DEP_2) | instskip(SKIP_3) | instid1(VALU_DEP_3)
	v_cndmask_b32_e64 v10, v20, v10, s0
	v_cndmask_b32_e32 v13, v18, v17, vcc_lo
	v_add_co_u32 v17, vcc_lo, v3, 1
	v_add_co_ci_u32_e32 v18, vcc_lo, 0, v12, vcc_lo
	v_cmp_ne_u32_e32 vcc_lo, 0, v13
	s_delay_alu instid0(VALU_DEP_2) | instskip(NEXT) | instid1(VALU_DEP_4)
	v_cndmask_b32_e32 v11, v18, v16, vcc_lo
	v_cndmask_b32_e32 v13, v17, v15, vcc_lo
	v_cmp_ne_u32_e32 vcc_lo, 0, v10
	v_xor_b32_e32 v15, s6, v19
	s_delay_alu instid0(VALU_DEP_3) | instskip(NEXT) | instid1(VALU_DEP_1)
	v_dual_cndmask_b32 v3, v3, v13 :: v_dual_cndmask_b32 v10, v12, v11
                                        ; implicit-def: $vgpr12_vgpr13
	v_xor_b32_e32 v3, v3, v15
	s_delay_alu instid0(VALU_DEP_2) | instskip(NEXT) | instid1(VALU_DEP_2)
	v_xor_b32_e32 v11, v10, v15
	v_sub_co_u32 v10, vcc_lo, v3, v15
	s_delay_alu instid0(VALU_DEP_2)
	v_sub_co_ci_u32_e32 v11, vcc_lo, v11, v15, vcc_lo
.LBB19_9:                               ;   in Loop: Header=BB19_3 Depth=1
	s_and_not1_saveexec_b32 s0, s5
	s_cbranch_execz .LBB19_11
; %bb.10:                               ;   in Loop: Header=BB19_3 Depth=1
	v_cvt_f32_u32_e32 v3, s24
	s_sub_i32 s5, 0, s24
	s_delay_alu instid0(VALU_DEP_1) | instskip(SKIP_2) | instid1(VALU_DEP_1)
	v_rcp_iflag_f32_e32 v3, v3
	s_waitcnt_depctr 0xfff
	v_mul_f32_e32 v3, 0x4f7ffffe, v3
	v_cvt_u32_f32_e32 v3, v3
	s_delay_alu instid0(VALU_DEP_1) | instskip(NEXT) | instid1(VALU_DEP_1)
	v_mul_lo_u32 v10, s5, v3
	v_mul_hi_u32 v10, v3, v10
	s_delay_alu instid0(VALU_DEP_1) | instskip(NEXT) | instid1(VALU_DEP_1)
	v_add_nc_u32_e32 v3, v3, v10
	v_mul_hi_u32 v3, v12, v3
	s_delay_alu instid0(VALU_DEP_1) | instskip(SKIP_1) | instid1(VALU_DEP_2)
	v_mul_lo_u32 v10, v3, s24
	v_add_nc_u32_e32 v11, 1, v3
	v_sub_nc_u32_e32 v10, v12, v10
	s_delay_alu instid0(VALU_DEP_1) | instskip(SKIP_1) | instid1(VALU_DEP_2)
	v_subrev_nc_u32_e32 v12, s24, v10
	v_cmp_le_u32_e32 vcc_lo, s24, v10
	v_dual_cndmask_b32 v10, v10, v12 :: v_dual_cndmask_b32 v3, v3, v11
	s_delay_alu instid0(VALU_DEP_1) | instskip(NEXT) | instid1(VALU_DEP_2)
	v_cmp_le_u32_e32 vcc_lo, s24, v10
	v_add_nc_u32_e32 v11, 1, v3
	s_delay_alu instid0(VALU_DEP_1)
	v_dual_cndmask_b32 v10, v3, v11 :: v_dual_mov_b32 v11, v2
.LBB19_11:                              ;   in Loop: Header=BB19_3 Depth=1
	s_or_b32 exec_lo, exec_lo, s0
	s_delay_alu instid0(VALU_DEP_1) | instskip(SKIP_1) | instid1(VALU_DEP_1)
	v_or_b32_e32 v3, s23, v11
                                        ; implicit-def: $vgpr12_vgpr13
	s_mov_b32 s0, exec_lo
	v_cmpx_ne_u64_e32 0, v[2:3]
	s_xor_b32 s5, exec_lo, s0
	s_cbranch_execz .LBB19_13
; %bb.12:                               ;   in Loop: Header=BB19_3 Depth=1
	s_ashr_i32 s8, s23, 31
	s_delay_alu instid0(SALU_CYCLE_1) | instskip(SKIP_2) | instid1(SALU_CYCLE_1)
	s_add_u32 s10, s22, s8
	s_mov_b32 s9, s8
	s_addc_u32 s11, s23, s8
	s_xor_b64 s[10:11], s[10:11], s[8:9]
	s_delay_alu instid0(SALU_CYCLE_1) | instskip(SKIP_3) | instid1(VALU_DEP_1)
	v_cvt_f32_u32_e32 v3, s10
	v_cvt_f32_u32_e32 v12, s11
	s_sub_u32 s0, 0, s10
	s_subb_u32 s7, 0, s11
	v_fmac_f32_e32 v3, 0x4f800000, v12
	s_delay_alu instid0(VALU_DEP_1) | instskip(SKIP_2) | instid1(VALU_DEP_1)
	v_rcp_f32_e32 v3, v3
	s_waitcnt_depctr 0xfff
	v_mul_f32_e32 v3, 0x5f7ffffc, v3
	v_mul_f32_e32 v12, 0x2f800000, v3
	s_delay_alu instid0(VALU_DEP_1) | instskip(NEXT) | instid1(VALU_DEP_1)
	v_trunc_f32_e32 v12, v12
	v_fmac_f32_e32 v3, 0xcf800000, v12
	v_cvt_u32_f32_e32 v12, v12
	s_delay_alu instid0(VALU_DEP_2) | instskip(NEXT) | instid1(VALU_DEP_2)
	v_cvt_u32_f32_e32 v3, v3
	v_mul_lo_u32 v13, s0, v12
	s_delay_alu instid0(VALU_DEP_2) | instskip(SKIP_1) | instid1(VALU_DEP_2)
	v_mul_hi_u32 v15, s0, v3
	v_mul_lo_u32 v16, s7, v3
	v_add_nc_u32_e32 v13, v15, v13
	v_mul_lo_u32 v15, s0, v3
	s_delay_alu instid0(VALU_DEP_2) | instskip(NEXT) | instid1(VALU_DEP_2)
	v_add_nc_u32_e32 v13, v13, v16
	v_mul_hi_u32 v16, v3, v15
	s_delay_alu instid0(VALU_DEP_2)
	v_mul_lo_u32 v17, v3, v13
	v_mul_hi_u32 v18, v3, v13
	v_mul_hi_u32 v19, v12, v15
	v_mul_lo_u32 v15, v12, v15
	v_mul_hi_u32 v20, v12, v13
	v_mul_lo_u32 v13, v12, v13
	v_add_co_u32 v16, vcc_lo, v16, v17
	v_add_co_ci_u32_e32 v17, vcc_lo, 0, v18, vcc_lo
	s_delay_alu instid0(VALU_DEP_2) | instskip(NEXT) | instid1(VALU_DEP_2)
	v_add_co_u32 v15, vcc_lo, v16, v15
	v_add_co_ci_u32_e32 v15, vcc_lo, v17, v19, vcc_lo
	v_add_co_ci_u32_e32 v16, vcc_lo, 0, v20, vcc_lo
	v_ashrrev_i32_e32 v19, 31, v11
	s_delay_alu instid0(VALU_DEP_3) | instskip(NEXT) | instid1(VALU_DEP_3)
	v_add_co_u32 v13, vcc_lo, v15, v13
	v_add_co_ci_u32_e32 v15, vcc_lo, 0, v16, vcc_lo
	s_delay_alu instid0(VALU_DEP_2) | instskip(NEXT) | instid1(VALU_DEP_2)
	v_add_co_u32 v3, vcc_lo, v3, v13
	v_add_co_ci_u32_e32 v12, vcc_lo, v12, v15, vcc_lo
	s_delay_alu instid0(VALU_DEP_2) | instskip(SKIP_1) | instid1(VALU_DEP_3)
	v_mul_hi_u32 v13, s0, v3
	v_mul_lo_u32 v16, s7, v3
	v_mul_lo_u32 v15, s0, v12
	s_delay_alu instid0(VALU_DEP_1) | instskip(SKIP_1) | instid1(VALU_DEP_2)
	v_add_nc_u32_e32 v13, v13, v15
	v_mul_lo_u32 v15, s0, v3
	v_add_nc_u32_e32 v13, v13, v16
	s_delay_alu instid0(VALU_DEP_2) | instskip(NEXT) | instid1(VALU_DEP_2)
	v_mul_hi_u32 v16, v3, v15
	v_mul_lo_u32 v17, v3, v13
	v_mul_hi_u32 v18, v3, v13
	v_mul_hi_u32 v20, v12, v15
	v_mul_lo_u32 v15, v12, v15
	v_mul_hi_u32 v21, v12, v13
	v_mul_lo_u32 v13, v12, v13
	v_add_co_u32 v16, vcc_lo, v16, v17
	v_add_co_ci_u32_e32 v17, vcc_lo, 0, v18, vcc_lo
	s_delay_alu instid0(VALU_DEP_2) | instskip(NEXT) | instid1(VALU_DEP_2)
	v_add_co_u32 v15, vcc_lo, v16, v15
	v_add_co_ci_u32_e32 v15, vcc_lo, v17, v20, vcc_lo
	v_add_co_ci_u32_e32 v16, vcc_lo, 0, v21, vcc_lo
	v_add_co_u32 v17, vcc_lo, v10, v19
	v_add_co_ci_u32_e32 v11, vcc_lo, v11, v19, vcc_lo
	s_delay_alu instid0(VALU_DEP_4) | instskip(NEXT) | instid1(VALU_DEP_4)
	v_add_co_u32 v13, vcc_lo, v15, v13
	v_add_co_ci_u32_e32 v15, vcc_lo, 0, v16, vcc_lo
	s_delay_alu instid0(VALU_DEP_4) | instskip(NEXT) | instid1(VALU_DEP_3)
	v_xor_b32_e32 v20, v17, v19
	v_add_co_u32 v3, vcc_lo, v3, v13
	s_delay_alu instid0(VALU_DEP_3) | instskip(SKIP_1) | instid1(VALU_DEP_3)
	v_add_co_ci_u32_e32 v13, vcc_lo, v12, v15, vcc_lo
	v_xor_b32_e32 v21, v11, v19
	v_mul_hi_u32 v22, v20, v3
	s_delay_alu instid0(VALU_DEP_3) | instskip(NEXT) | instid1(VALU_DEP_3)
	v_mad_u64_u32 v[11:12], null, v20, v13, 0
	v_mad_u64_u32 v[15:16], null, v21, v3, 0
	;; [unrolled: 1-line block ×3, first 2 shown]
	s_delay_alu instid0(VALU_DEP_3) | instskip(NEXT) | instid1(VALU_DEP_4)
	v_add_co_u32 v3, vcc_lo, v22, v11
	v_add_co_ci_u32_e32 v11, vcc_lo, 0, v12, vcc_lo
	s_delay_alu instid0(VALU_DEP_2) | instskip(NEXT) | instid1(VALU_DEP_2)
	v_add_co_u32 v3, vcc_lo, v3, v15
	v_add_co_ci_u32_e32 v3, vcc_lo, v11, v16, vcc_lo
	v_add_co_ci_u32_e32 v11, vcc_lo, 0, v18, vcc_lo
	s_delay_alu instid0(VALU_DEP_2) | instskip(NEXT) | instid1(VALU_DEP_2)
	v_add_co_u32 v3, vcc_lo, v3, v17
	v_add_co_ci_u32_e32 v13, vcc_lo, 0, v11, vcc_lo
	s_delay_alu instid0(VALU_DEP_2) | instskip(SKIP_1) | instid1(VALU_DEP_3)
	v_mul_lo_u32 v15, s11, v3
	v_mad_u64_u32 v[11:12], null, s10, v3, 0
	v_mul_lo_u32 v13, s10, v13
	s_delay_alu instid0(VALU_DEP_2) | instskip(NEXT) | instid1(VALU_DEP_2)
	v_sub_co_u32 v11, vcc_lo, v20, v11
	v_add3_u32 v12, v12, v13, v15
	v_add_co_u32 v15, s0, v3, 2
	s_delay_alu instid0(VALU_DEP_2) | instskip(NEXT) | instid1(VALU_DEP_1)
	v_sub_nc_u32_e32 v13, v21, v12
	v_subrev_co_ci_u32_e64 v13, s0, s11, v13, vcc_lo
	v_sub_co_u32 v16, s0, v11, s10
	v_sub_co_ci_u32_e32 v12, vcc_lo, v21, v12, vcc_lo
	s_delay_alu instid0(VALU_DEP_3) | instskip(NEXT) | instid1(VALU_DEP_3)
	v_subrev_co_ci_u32_e64 v13, s0, 0, v13, s0
	v_cmp_le_u32_e32 vcc_lo, s10, v16
	v_cndmask_b32_e64 v16, 0, -1, vcc_lo
	s_delay_alu instid0(VALU_DEP_3)
	v_cmp_le_u32_e32 vcc_lo, s11, v13
	v_cndmask_b32_e64 v17, 0, -1, vcc_lo
	v_cmp_le_u32_e32 vcc_lo, s10, v11
	v_cndmask_b32_e64 v11, 0, -1, vcc_lo
	;; [unrolled: 2-line block ×3, first 2 shown]
	v_cmp_eq_u32_e32 vcc_lo, s11, v13
	v_cndmask_b32_e32 v13, v17, v16, vcc_lo
	v_add_co_u32 v16, vcc_lo, v3, 1
	v_cmp_eq_u32_e32 vcc_lo, s11, v12
	v_cndmask_b32_e32 v11, v18, v11, vcc_lo
	s_delay_alu instid0(VALU_DEP_4) | instskip(NEXT) | instid1(VALU_DEP_4)
	v_cmp_ne_u32_e32 vcc_lo, 0, v13
	v_cndmask_b32_e32 v12, v16, v15, vcc_lo
	s_delay_alu instid0(VALU_DEP_3) | instskip(SKIP_1) | instid1(VALU_DEP_3)
	v_cmp_ne_u32_e32 vcc_lo, 0, v11
	v_xor_b32_e32 v11, s8, v19
	v_cndmask_b32_e32 v3, v3, v12, vcc_lo
	s_delay_alu instid0(VALU_DEP_1) | instskip(NEXT) | instid1(VALU_DEP_1)
	v_xor_b32_e32 v3, v3, v11
	v_sub_co_u32 v12, vcc_lo, v3, v11
.LBB19_13:                              ;   in Loop: Header=BB19_3 Depth=1
	s_and_not1_saveexec_b32 s0, s5
	s_cbranch_execz .LBB19_2
; %bb.14:                               ;   in Loop: Header=BB19_3 Depth=1
	v_cvt_f32_u32_e32 v3, s22
	s_sub_i32 s5, 0, s22
	s_delay_alu instid0(VALU_DEP_1) | instskip(SKIP_2) | instid1(VALU_DEP_1)
	v_rcp_iflag_f32_e32 v3, v3
	s_waitcnt_depctr 0xfff
	v_mul_f32_e32 v3, 0x4f7ffffe, v3
	v_cvt_u32_f32_e32 v3, v3
	s_delay_alu instid0(VALU_DEP_1) | instskip(NEXT) | instid1(VALU_DEP_1)
	v_mul_lo_u32 v11, s5, v3
	v_mul_hi_u32 v11, v3, v11
	s_delay_alu instid0(VALU_DEP_1) | instskip(NEXT) | instid1(VALU_DEP_1)
	v_add_nc_u32_e32 v3, v3, v11
	v_mul_hi_u32 v3, v10, v3
	s_delay_alu instid0(VALU_DEP_1) | instskip(NEXT) | instid1(VALU_DEP_1)
	v_mul_lo_u32 v11, v3, s22
	v_sub_nc_u32_e32 v11, v10, v11
	s_delay_alu instid0(VALU_DEP_1) | instskip(SKIP_1) | instid1(VALU_DEP_2)
	v_subrev_nc_u32_e32 v13, s22, v11
	v_cmp_le_u32_e32 vcc_lo, s22, v11
	v_dual_cndmask_b32 v11, v11, v13 :: v_dual_add_nc_u32 v12, 1, v3
	s_delay_alu instid0(VALU_DEP_1) | instskip(NEXT) | instid1(VALU_DEP_2)
	v_cndmask_b32_e32 v3, v3, v12, vcc_lo
	v_cmp_le_u32_e32 vcc_lo, s22, v11
	s_delay_alu instid0(VALU_DEP_2) | instskip(NEXT) | instid1(VALU_DEP_1)
	v_add_nc_u32_e32 v12, 1, v3
	v_cndmask_b32_e32 v12, v3, v12, vcc_lo
	s_branch .LBB19_2
.LBB19_15:
	s_nop 0
	s_sendmsg sendmsg(MSG_DEALLOC_VGPRS)
	s_endpgm
	.section	.rodata,"a",@progbits
	.p2align	6, 0x0
	.amdhsa_kernel _ZN2at6native31max_unpooling2d_backward_kernelIaEEvlPKT_PKllllllPS2_
		.amdhsa_group_segment_fixed_size 0
		.amdhsa_private_segment_fixed_size 0
		.amdhsa_kernarg_size 328
		.amdhsa_user_sgpr_count 15
		.amdhsa_user_sgpr_dispatch_ptr 0
		.amdhsa_user_sgpr_queue_ptr 0
		.amdhsa_user_sgpr_kernarg_segment_ptr 1
		.amdhsa_user_sgpr_dispatch_id 0
		.amdhsa_user_sgpr_private_segment_size 0
		.amdhsa_wavefront_size32 1
		.amdhsa_uses_dynamic_stack 0
		.amdhsa_enable_private_segment 0
		.amdhsa_system_sgpr_workgroup_id_x 1
		.amdhsa_system_sgpr_workgroup_id_y 0
		.amdhsa_system_sgpr_workgroup_id_z 0
		.amdhsa_system_sgpr_workgroup_info 0
		.amdhsa_system_vgpr_workitem_id 0
		.amdhsa_next_free_vgpr 23
		.amdhsa_next_free_sgpr 32
		.amdhsa_reserve_vcc 1
		.amdhsa_float_round_mode_32 0
		.amdhsa_float_round_mode_16_64 0
		.amdhsa_float_denorm_mode_32 3
		.amdhsa_float_denorm_mode_16_64 3
		.amdhsa_dx10_clamp 1
		.amdhsa_ieee_mode 1
		.amdhsa_fp16_overflow 0
		.amdhsa_workgroup_processor_mode 1
		.amdhsa_memory_ordered 1
		.amdhsa_forward_progress 0
		.amdhsa_shared_vgpr_count 0
		.amdhsa_exception_fp_ieee_invalid_op 0
		.amdhsa_exception_fp_denorm_src 0
		.amdhsa_exception_fp_ieee_div_zero 0
		.amdhsa_exception_fp_ieee_overflow 0
		.amdhsa_exception_fp_ieee_underflow 0
		.amdhsa_exception_fp_ieee_inexact 0
		.amdhsa_exception_int_div_zero 0
	.end_amdhsa_kernel
	.section	.text._ZN2at6native31max_unpooling2d_backward_kernelIaEEvlPKT_PKllllllPS2_,"axG",@progbits,_ZN2at6native31max_unpooling2d_backward_kernelIaEEvlPKT_PKllllllPS2_,comdat
.Lfunc_end19:
	.size	_ZN2at6native31max_unpooling2d_backward_kernelIaEEvlPKT_PKllllllPS2_, .Lfunc_end19-_ZN2at6native31max_unpooling2d_backward_kernelIaEEvlPKT_PKllllllPS2_
                                        ; -- End function
	.section	.AMDGPU.csdata,"",@progbits
; Kernel info:
; codeLenInByte = 3360
; NumSgprs: 34
; NumVgprs: 23
; ScratchSize: 0
; MemoryBound: 0
; FloatMode: 240
; IeeeMode: 1
; LDSByteSize: 0 bytes/workgroup (compile time only)
; SGPRBlocks: 4
; VGPRBlocks: 2
; NumSGPRsForWavesPerEU: 34
; NumVGPRsForWavesPerEU: 23
; Occupancy: 16
; WaveLimiterHint : 1
; COMPUTE_PGM_RSRC2:SCRATCH_EN: 0
; COMPUTE_PGM_RSRC2:USER_SGPR: 15
; COMPUTE_PGM_RSRC2:TRAP_HANDLER: 0
; COMPUTE_PGM_RSRC2:TGID_X_EN: 1
; COMPUTE_PGM_RSRC2:TGID_Y_EN: 0
; COMPUTE_PGM_RSRC2:TGID_Z_EN: 0
; COMPUTE_PGM_RSRC2:TIDIG_COMP_CNT: 0
	.section	.text._ZN2at6native31max_unpooling2d_backward_kernelIiEEvlPKT_PKllllllPS2_,"axG",@progbits,_ZN2at6native31max_unpooling2d_backward_kernelIiEEvlPKT_PKllllllPS2_,comdat
	.protected	_ZN2at6native31max_unpooling2d_backward_kernelIiEEvlPKT_PKllllllPS2_ ; -- Begin function _ZN2at6native31max_unpooling2d_backward_kernelIiEEvlPKT_PKllllllPS2_
	.globl	_ZN2at6native31max_unpooling2d_backward_kernelIiEEvlPKT_PKllllllPS2_
	.p2align	8
	.type	_ZN2at6native31max_unpooling2d_backward_kernelIiEEvlPKT_PKllllllPS2_,@function
_ZN2at6native31max_unpooling2d_backward_kernelIiEEvlPKT_PKllllllPS2_: ; @_ZN2at6native31max_unpooling2d_backward_kernelIiEEvlPKT_PKllllllPS2_
; %bb.0:
	s_clause 0x1
	s_load_b32 s4, s[0:1], 0x54
	s_load_b512 s[16:31], s[0:1], 0x0
	v_mov_b32_e32 v2, 0
	s_add_u32 s2, s0, 0x48
	s_addc_u32 s3, s1, 0
	s_mov_b32 s5, exec_lo
	s_delay_alu instid0(VALU_DEP_1)
	v_mov_b32_e32 v1, v2
	s_waitcnt lgkmcnt(0)
	s_and_b32 s4, s4, 0xffff
	s_delay_alu instid0(VALU_DEP_1) | instid1(SALU_CYCLE_1)
	v_mad_u64_u32 v[4:5], null, s4, s15, v[0:1]
	s_delay_alu instid0(VALU_DEP_1)
	v_cmpx_gt_i64_e64 s[16:17], v[4:5]
	s_cbranch_execz .LBB20_15
; %bb.1:
	v_cvt_f32_u32_e32 v0, s26
	s_load_b32 s5, s[2:3], 0x0
	s_sub_i32 s2, 0, s26
	s_mul_hi_u32 s6, s30, s28
	s_mul_i32 s7, s31, s28
	v_rcp_iflag_f32_e32 v0, v0
	s_mov_b32 s12, 0
	s_waitcnt_depctr 0xfff
	v_dual_mov_b32 v3, v4 :: v_dual_mul_f32 v0, 0x4f7ffffe, v0
	s_delay_alu instid0(VALU_DEP_1)
	v_cvt_u32_f32_e32 v6, v0
	s_waitcnt lgkmcnt(0)
	s_mul_i32 s14, s5, s4
	s_ashr_i32 s4, s27, 31
	s_mov_b32 s15, s14
	v_mul_lo_u32 v0, s2, v6
	s_load_b64 s[2:3], s[0:1], 0x40
	s_mul_i32 s0, s30, s29
	s_mul_i32 s1, s30, s28
	s_add_i32 s0, s6, s0
	s_ashr_i32 s6, s25, 31
	s_add_i32 s13, s0, s7
	s_delay_alu instid0(VALU_DEP_1) | instskip(SKIP_1) | instid1(VALU_DEP_2)
	v_mul_hi_u32 v7, v6, v0
	v_dual_mov_b32 v0, s18 :: v_dual_mov_b32 v1, s19
	v_dual_mov_b32 v7, v3 :: v_dual_add_nc_u32 v14, v6, v7
	v_mov_b32_e32 v6, v2
	s_branch .LBB20_3
.LBB20_2:                               ;   in Loop: Header=BB20_3 Depth=1
	s_or_b32 exec_lo, exec_lo, s0
	v_lshlrev_b64 v[15:16], 3, v[8:9]
	s_delay_alu instid0(VALU_DEP_2)
	v_mul_lo_u32 v11, v12, s22
	v_ashrrev_i32_e32 v13, 31, v12
	v_mul_lo_u32 v17, v12, s23
	v_lshlrev_b64 v[8:9], 2, v[8:9]
	v_add_co_u32 v6, s0, v6, 0
	v_add_co_u32 v15, vcc_lo, s20, v15
	v_add_co_ci_u32_e32 v16, vcc_lo, s21, v16, vcc_lo
	v_sub_nc_u32_e32 v10, v10, v11
	v_mul_lo_u32 v13, v13, s22
	v_add_co_ci_u32_e64 v7, s0, s15, v7, s0
	global_load_b32 v3, v[15:16], off
	v_ashrrev_i32_e32 v11, 31, v10
	s_delay_alu instid0(VALU_DEP_1) | instskip(NEXT) | instid1(VALU_DEP_1)
	v_mad_u64_u32 v[15:16], null, v12, s22, v[10:11]
	v_add3_u32 v12, v13, v16, v17
	s_delay_alu instid0(VALU_DEP_2) | instskip(SKIP_1) | instid1(VALU_DEP_3)
	v_mul_lo_u32 v13, s13, v15
	v_mad_u64_u32 v[10:11], null, s1, v15, 0
	v_mul_lo_u32 v12, s1, v12
	s_delay_alu instid0(VALU_DEP_1) | instskip(NEXT) | instid1(VALU_DEP_1)
	v_add3_u32 v11, v11, v12, v13
	v_lshlrev_b64 v[10:11], 2, v[10:11]
	s_delay_alu instid0(VALU_DEP_1) | instskip(NEXT) | instid1(VALU_DEP_2)
	v_add_co_u32 v0, vcc_lo, v0, v10
	v_add_co_ci_u32_e32 v1, vcc_lo, v1, v11, vcc_lo
	s_waitcnt vmcnt(0)
	v_ashrrev_i64 v[12:13], 30, v[2:3]
	s_delay_alu instid0(VALU_DEP_1) | instskip(NEXT) | instid1(VALU_DEP_2)
	v_add_co_u32 v10, vcc_lo, v0, v12
	v_add_co_ci_u32_e32 v11, vcc_lo, v1, v13, vcc_lo
	v_add_co_u32 v4, vcc_lo, v4, s14
	v_add_co_ci_u32_e32 v5, vcc_lo, 0, v5, vcc_lo
	global_load_b32 v3, v[10:11], off
	s_waitcnt lgkmcnt(0)
	v_add_co_u32 v8, vcc_lo, s2, v8
	v_add_co_ci_u32_e32 v9, vcc_lo, s3, v9, vcc_lo
	v_cmp_le_i64_e32 vcc_lo, s[16:17], v[4:5]
	s_or_b32 s12, vcc_lo, s12
	s_waitcnt vmcnt(0)
	global_store_b32 v[8:9], v3, off
	s_and_not1_b32 exec_lo, exec_lo, s12
	s_cbranch_execz .LBB20_15
.LBB20_3:                               ; =>This Inner Loop Header: Depth=1
	s_delay_alu instid0(VALU_DEP_2) | instskip(SKIP_2) | instid1(VALU_DEP_2)
	v_ashrrev_i32_e32 v9, 31, v7
	v_mov_b32_e32 v8, v7
                                        ; implicit-def: $vgpr12_vgpr13
	s_mov_b32 s0, exec_lo
	v_or_b32_e32 v3, s27, v9
	s_delay_alu instid0(VALU_DEP_1)
	v_cmpx_ne_u64_e32 0, v[2:3]
	s_xor_b32 s7, exec_lo, s0
	s_cbranch_execz .LBB20_5
; %bb.4:                                ;   in Loop: Header=BB20_3 Depth=1
	s_add_u32 s8, s26, s4
	s_mov_b32 s5, s4
	s_addc_u32 s9, s27, s4
	s_delay_alu instid0(SALU_CYCLE_1) | instskip(NEXT) | instid1(SALU_CYCLE_1)
	s_xor_b64 s[8:9], s[8:9], s[4:5]
	v_cvt_f32_u32_e32 v3, s8
	v_cvt_f32_u32_e32 v10, s9
	s_sub_u32 s0, 0, s8
	s_subb_u32 s5, 0, s9
	s_delay_alu instid0(VALU_DEP_1) | instskip(NEXT) | instid1(VALU_DEP_1)
	v_fmac_f32_e32 v3, 0x4f800000, v10
	v_rcp_f32_e32 v3, v3
	s_waitcnt_depctr 0xfff
	v_mul_f32_e32 v3, 0x5f7ffffc, v3
	s_delay_alu instid0(VALU_DEP_1) | instskip(NEXT) | instid1(VALU_DEP_1)
	v_mul_f32_e32 v10, 0x2f800000, v3
	v_trunc_f32_e32 v10, v10
	s_delay_alu instid0(VALU_DEP_1) | instskip(SKIP_1) | instid1(VALU_DEP_2)
	v_fmac_f32_e32 v3, 0xcf800000, v10
	v_cvt_u32_f32_e32 v10, v10
	v_cvt_u32_f32_e32 v3, v3
	s_delay_alu instid0(VALU_DEP_2) | instskip(NEXT) | instid1(VALU_DEP_2)
	v_mul_lo_u32 v11, s0, v10
	v_mul_hi_u32 v12, s0, v3
	v_mul_lo_u32 v13, s5, v3
	s_delay_alu instid0(VALU_DEP_2) | instskip(SKIP_1) | instid1(VALU_DEP_2)
	v_add_nc_u32_e32 v11, v12, v11
	v_mul_lo_u32 v12, s0, v3
	v_add_nc_u32_e32 v11, v11, v13
	s_delay_alu instid0(VALU_DEP_2) | instskip(NEXT) | instid1(VALU_DEP_2)
	v_mul_hi_u32 v13, v3, v12
	v_mul_lo_u32 v15, v3, v11
	v_mul_hi_u32 v16, v3, v11
	v_mul_hi_u32 v17, v10, v12
	v_mul_lo_u32 v12, v10, v12
	v_mul_hi_u32 v18, v10, v11
	v_mul_lo_u32 v11, v10, v11
	v_add_co_u32 v13, vcc_lo, v13, v15
	v_add_co_ci_u32_e32 v15, vcc_lo, 0, v16, vcc_lo
	s_delay_alu instid0(VALU_DEP_2) | instskip(NEXT) | instid1(VALU_DEP_2)
	v_add_co_u32 v12, vcc_lo, v13, v12
	v_add_co_ci_u32_e32 v12, vcc_lo, v15, v17, vcc_lo
	v_add_co_ci_u32_e32 v13, vcc_lo, 0, v18, vcc_lo
	v_ashrrev_i32_e32 v17, 31, v9
	s_delay_alu instid0(VALU_DEP_3) | instskip(NEXT) | instid1(VALU_DEP_3)
	v_add_co_u32 v11, vcc_lo, v12, v11
	v_add_co_ci_u32_e32 v12, vcc_lo, 0, v13, vcc_lo
	s_delay_alu instid0(VALU_DEP_2) | instskip(NEXT) | instid1(VALU_DEP_2)
	v_add_co_u32 v3, vcc_lo, v3, v11
	v_add_co_ci_u32_e32 v10, vcc_lo, v10, v12, vcc_lo
	s_delay_alu instid0(VALU_DEP_2) | instskip(SKIP_1) | instid1(VALU_DEP_3)
	v_mul_hi_u32 v11, s0, v3
	v_mul_lo_u32 v13, s5, v3
	v_mul_lo_u32 v12, s0, v10
	s_delay_alu instid0(VALU_DEP_1) | instskip(SKIP_1) | instid1(VALU_DEP_2)
	v_add_nc_u32_e32 v11, v11, v12
	v_mul_lo_u32 v12, s0, v3
	v_add_nc_u32_e32 v11, v11, v13
	s_delay_alu instid0(VALU_DEP_2) | instskip(NEXT) | instid1(VALU_DEP_2)
	v_mul_hi_u32 v13, v3, v12
	v_mul_lo_u32 v15, v3, v11
	v_mul_hi_u32 v16, v3, v11
	v_mul_hi_u32 v18, v10, v12
	v_mul_lo_u32 v12, v10, v12
	v_mul_hi_u32 v19, v10, v11
	v_mul_lo_u32 v11, v10, v11
	v_add_co_u32 v13, vcc_lo, v13, v15
	v_add_co_ci_u32_e32 v15, vcc_lo, 0, v16, vcc_lo
	s_delay_alu instid0(VALU_DEP_2) | instskip(NEXT) | instid1(VALU_DEP_2)
	v_add_co_u32 v12, vcc_lo, v13, v12
	v_add_co_ci_u32_e32 v12, vcc_lo, v15, v18, vcc_lo
	v_add_co_ci_u32_e32 v13, vcc_lo, 0, v19, vcc_lo
	v_add_co_u32 v15, vcc_lo, v8, v17
	v_add_co_ci_u32_e32 v16, vcc_lo, v9, v17, vcc_lo
	s_delay_alu instid0(VALU_DEP_4) | instskip(NEXT) | instid1(VALU_DEP_4)
	v_add_co_u32 v11, vcc_lo, v12, v11
	v_add_co_ci_u32_e32 v12, vcc_lo, 0, v13, vcc_lo
	s_delay_alu instid0(VALU_DEP_4) | instskip(NEXT) | instid1(VALU_DEP_3)
	v_xor_b32_e32 v18, v15, v17
	v_add_co_u32 v3, vcc_lo, v3, v11
	s_delay_alu instid0(VALU_DEP_3) | instskip(SKIP_1) | instid1(VALU_DEP_3)
	v_add_co_ci_u32_e32 v19, vcc_lo, v10, v12, vcc_lo
	v_xor_b32_e32 v20, v16, v17
	v_mul_hi_u32 v21, v18, v3
	s_delay_alu instid0(VALU_DEP_3) | instskip(NEXT) | instid1(VALU_DEP_3)
	v_mad_u64_u32 v[10:11], null, v18, v19, 0
	v_mad_u64_u32 v[12:13], null, v20, v3, 0
	;; [unrolled: 1-line block ×3, first 2 shown]
	s_delay_alu instid0(VALU_DEP_3) | instskip(NEXT) | instid1(VALU_DEP_4)
	v_add_co_u32 v3, vcc_lo, v21, v10
	v_add_co_ci_u32_e32 v10, vcc_lo, 0, v11, vcc_lo
	s_delay_alu instid0(VALU_DEP_2) | instskip(NEXT) | instid1(VALU_DEP_2)
	v_add_co_u32 v3, vcc_lo, v3, v12
	v_add_co_ci_u32_e32 v3, vcc_lo, v10, v13, vcc_lo
	v_add_co_ci_u32_e32 v10, vcc_lo, 0, v16, vcc_lo
	s_delay_alu instid0(VALU_DEP_2) | instskip(NEXT) | instid1(VALU_DEP_2)
	v_add_co_u32 v3, vcc_lo, v3, v15
	v_add_co_ci_u32_e32 v12, vcc_lo, 0, v10, vcc_lo
	s_delay_alu instid0(VALU_DEP_2) | instskip(SKIP_1) | instid1(VALU_DEP_3)
	v_mul_lo_u32 v13, s9, v3
	v_mad_u64_u32 v[10:11], null, s8, v3, 0
	v_mul_lo_u32 v15, s8, v12
	s_delay_alu instid0(VALU_DEP_2) | instskip(NEXT) | instid1(VALU_DEP_2)
	v_sub_co_u32 v10, vcc_lo, v18, v10
	v_add3_u32 v11, v11, v15, v13
	s_delay_alu instid0(VALU_DEP_1) | instskip(NEXT) | instid1(VALU_DEP_1)
	v_sub_nc_u32_e32 v13, v20, v11
	v_subrev_co_ci_u32_e64 v13, s0, s9, v13, vcc_lo
	v_add_co_u32 v15, s0, v3, 2
	s_delay_alu instid0(VALU_DEP_1) | instskip(SKIP_3) | instid1(VALU_DEP_3)
	v_add_co_ci_u32_e64 v16, s0, 0, v12, s0
	v_sub_co_u32 v18, s0, v10, s8
	v_sub_co_ci_u32_e32 v11, vcc_lo, v20, v11, vcc_lo
	v_subrev_co_ci_u32_e64 v13, s0, 0, v13, s0
	v_cmp_le_u32_e32 vcc_lo, s8, v18
	s_delay_alu instid0(VALU_DEP_3) | instskip(SKIP_1) | instid1(VALU_DEP_4)
	v_cmp_eq_u32_e64 s0, s9, v11
	v_cndmask_b32_e64 v18, 0, -1, vcc_lo
	v_cmp_le_u32_e32 vcc_lo, s9, v13
	v_cndmask_b32_e64 v19, 0, -1, vcc_lo
	v_cmp_le_u32_e32 vcc_lo, s8, v10
	;; [unrolled: 2-line block ×3, first 2 shown]
	v_cndmask_b32_e64 v20, 0, -1, vcc_lo
	v_cmp_eq_u32_e32 vcc_lo, s9, v13
	s_delay_alu instid0(VALU_DEP_2) | instskip(SKIP_3) | instid1(VALU_DEP_3)
	v_cndmask_b32_e64 v10, v20, v10, s0
	v_cndmask_b32_e32 v13, v19, v18, vcc_lo
	v_add_co_u32 v18, vcc_lo, v3, 1
	v_add_co_ci_u32_e32 v19, vcc_lo, 0, v12, vcc_lo
	v_cmp_ne_u32_e32 vcc_lo, 0, v13
	s_delay_alu instid0(VALU_DEP_2) | instskip(NEXT) | instid1(VALU_DEP_4)
	v_cndmask_b32_e32 v11, v19, v16, vcc_lo
	v_cndmask_b32_e32 v13, v18, v15, vcc_lo
	v_cmp_ne_u32_e32 vcc_lo, 0, v10
	v_xor_b32_e32 v10, s4, v17
	s_delay_alu instid0(VALU_DEP_3) | instskip(SKIP_1) | instid1(VALU_DEP_2)
	v_cndmask_b32_e32 v3, v3, v13, vcc_lo
	v_cndmask_b32_e32 v11, v12, v11, vcc_lo
	v_xor_b32_e32 v3, v3, v10
	s_delay_alu instid0(VALU_DEP_2) | instskip(NEXT) | instid1(VALU_DEP_2)
	v_xor_b32_e32 v11, v11, v10
	v_sub_co_u32 v12, vcc_lo, v3, v10
	s_delay_alu instid0(VALU_DEP_2)
	v_sub_co_ci_u32_e32 v13, vcc_lo, v11, v10, vcc_lo
.LBB20_5:                               ;   in Loop: Header=BB20_3 Depth=1
	s_and_not1_saveexec_b32 s0, s7
; %bb.6:                                ;   in Loop: Header=BB20_3 Depth=1
	v_mul_hi_u32 v3, v7, v14
	v_mov_b32_e32 v13, v2
	s_delay_alu instid0(VALU_DEP_2) | instskip(NEXT) | instid1(VALU_DEP_1)
	v_mul_lo_u32 v10, v3, s26
	v_sub_nc_u32_e32 v10, v7, v10
	s_delay_alu instid0(VALU_DEP_1) | instskip(SKIP_1) | instid1(VALU_DEP_2)
	v_subrev_nc_u32_e32 v12, s26, v10
	v_cmp_le_u32_e32 vcc_lo, s26, v10
	v_dual_cndmask_b32 v10, v10, v12 :: v_dual_add_nc_u32 v11, 1, v3
	s_delay_alu instid0(VALU_DEP_1) | instskip(NEXT) | instid1(VALU_DEP_2)
	v_cndmask_b32_e32 v3, v3, v11, vcc_lo
	v_cmp_le_u32_e32 vcc_lo, s26, v10
	s_delay_alu instid0(VALU_DEP_2) | instskip(NEXT) | instid1(VALU_DEP_1)
	v_add_nc_u32_e32 v11, 1, v3
	v_cndmask_b32_e32 v12, v3, v11, vcc_lo
; %bb.7:                                ;   in Loop: Header=BB20_3 Depth=1
	s_or_b32 exec_lo, exec_lo, s0
	v_or_b32_e32 v3, s25, v13
                                        ; implicit-def: $vgpr10_vgpr11
	s_mov_b32 s0, exec_lo
	s_delay_alu instid0(VALU_DEP_1)
	v_cmpx_ne_u64_e32 0, v[2:3]
	s_xor_b32 s5, exec_lo, s0
	s_cbranch_execz .LBB20_9
; %bb.8:                                ;   in Loop: Header=BB20_3 Depth=1
	s_add_u32 s8, s24, s6
	s_mov_b32 s7, s6
	s_addc_u32 s9, s25, s6
	s_delay_alu instid0(SALU_CYCLE_1) | instskip(NEXT) | instid1(SALU_CYCLE_1)
	s_xor_b64 s[8:9], s[8:9], s[6:7]
	v_cvt_f32_u32_e32 v3, s8
	v_cvt_f32_u32_e32 v10, s9
	s_sub_u32 s0, 0, s8
	s_subb_u32 s7, 0, s9
	s_delay_alu instid0(VALU_DEP_1) | instskip(NEXT) | instid1(VALU_DEP_1)
	v_fmac_f32_e32 v3, 0x4f800000, v10
	v_rcp_f32_e32 v3, v3
	s_waitcnt_depctr 0xfff
	v_mul_f32_e32 v3, 0x5f7ffffc, v3
	s_delay_alu instid0(VALU_DEP_1) | instskip(NEXT) | instid1(VALU_DEP_1)
	v_mul_f32_e32 v10, 0x2f800000, v3
	v_trunc_f32_e32 v10, v10
	s_delay_alu instid0(VALU_DEP_1) | instskip(SKIP_1) | instid1(VALU_DEP_2)
	v_fmac_f32_e32 v3, 0xcf800000, v10
	v_cvt_u32_f32_e32 v10, v10
	v_cvt_u32_f32_e32 v3, v3
	s_delay_alu instid0(VALU_DEP_2) | instskip(NEXT) | instid1(VALU_DEP_2)
	v_mul_lo_u32 v11, s0, v10
	v_mul_hi_u32 v15, s0, v3
	v_mul_lo_u32 v16, s7, v3
	s_delay_alu instid0(VALU_DEP_2) | instskip(SKIP_1) | instid1(VALU_DEP_2)
	v_add_nc_u32_e32 v11, v15, v11
	v_mul_lo_u32 v15, s0, v3
	v_add_nc_u32_e32 v11, v11, v16
	s_delay_alu instid0(VALU_DEP_2) | instskip(NEXT) | instid1(VALU_DEP_2)
	v_mul_hi_u32 v16, v3, v15
	v_mul_lo_u32 v17, v3, v11
	v_mul_hi_u32 v18, v3, v11
	v_mul_hi_u32 v19, v10, v15
	v_mul_lo_u32 v15, v10, v15
	v_mul_hi_u32 v20, v10, v11
	v_mul_lo_u32 v11, v10, v11
	v_add_co_u32 v16, vcc_lo, v16, v17
	v_add_co_ci_u32_e32 v17, vcc_lo, 0, v18, vcc_lo
	s_delay_alu instid0(VALU_DEP_2) | instskip(NEXT) | instid1(VALU_DEP_2)
	v_add_co_u32 v15, vcc_lo, v16, v15
	v_add_co_ci_u32_e32 v15, vcc_lo, v17, v19, vcc_lo
	v_add_co_ci_u32_e32 v16, vcc_lo, 0, v20, vcc_lo
	v_ashrrev_i32_e32 v19, 31, v13
	s_delay_alu instid0(VALU_DEP_3) | instskip(NEXT) | instid1(VALU_DEP_3)
	v_add_co_u32 v11, vcc_lo, v15, v11
	v_add_co_ci_u32_e32 v15, vcc_lo, 0, v16, vcc_lo
	s_delay_alu instid0(VALU_DEP_2) | instskip(NEXT) | instid1(VALU_DEP_2)
	v_add_co_u32 v3, vcc_lo, v3, v11
	v_add_co_ci_u32_e32 v10, vcc_lo, v10, v15, vcc_lo
	s_delay_alu instid0(VALU_DEP_2) | instskip(SKIP_1) | instid1(VALU_DEP_3)
	v_mul_hi_u32 v11, s0, v3
	v_mul_lo_u32 v16, s7, v3
	v_mul_lo_u32 v15, s0, v10
	s_delay_alu instid0(VALU_DEP_1) | instskip(SKIP_1) | instid1(VALU_DEP_2)
	v_add_nc_u32_e32 v11, v11, v15
	v_mul_lo_u32 v15, s0, v3
	v_add_nc_u32_e32 v11, v11, v16
	s_delay_alu instid0(VALU_DEP_2) | instskip(NEXT) | instid1(VALU_DEP_2)
	v_mul_hi_u32 v16, v3, v15
	v_mul_lo_u32 v17, v3, v11
	v_mul_hi_u32 v18, v3, v11
	v_mul_hi_u32 v20, v10, v15
	v_mul_lo_u32 v15, v10, v15
	v_mul_hi_u32 v21, v10, v11
	v_mul_lo_u32 v11, v10, v11
	v_add_co_u32 v16, vcc_lo, v16, v17
	v_add_co_ci_u32_e32 v17, vcc_lo, 0, v18, vcc_lo
	s_delay_alu instid0(VALU_DEP_2) | instskip(NEXT) | instid1(VALU_DEP_2)
	v_add_co_u32 v15, vcc_lo, v16, v15
	v_add_co_ci_u32_e32 v15, vcc_lo, v17, v20, vcc_lo
	v_add_co_ci_u32_e32 v16, vcc_lo, 0, v21, vcc_lo
	v_add_co_u32 v12, vcc_lo, v12, v19
	v_add_co_ci_u32_e32 v13, vcc_lo, v13, v19, vcc_lo
	s_delay_alu instid0(VALU_DEP_4) | instskip(NEXT) | instid1(VALU_DEP_4)
	v_add_co_u32 v11, vcc_lo, v15, v11
	v_add_co_ci_u32_e32 v15, vcc_lo, 0, v16, vcc_lo
	s_delay_alu instid0(VALU_DEP_4) | instskip(NEXT) | instid1(VALU_DEP_3)
	v_xor_b32_e32 v17, v12, v19
	v_add_co_u32 v3, vcc_lo, v3, v11
	s_delay_alu instid0(VALU_DEP_3) | instskip(SKIP_1) | instid1(VALU_DEP_3)
	v_add_co_ci_u32_e32 v18, vcc_lo, v10, v15, vcc_lo
	v_xor_b32_e32 v20, v13, v19
	v_mul_hi_u32 v21, v17, v3
	s_delay_alu instid0(VALU_DEP_3) | instskip(NEXT) | instid1(VALU_DEP_3)
	v_mad_u64_u32 v[10:11], null, v17, v18, 0
	v_mad_u64_u32 v[12:13], null, v20, v3, 0
	;; [unrolled: 1-line block ×3, first 2 shown]
	s_delay_alu instid0(VALU_DEP_3) | instskip(NEXT) | instid1(VALU_DEP_4)
	v_add_co_u32 v3, vcc_lo, v21, v10
	v_add_co_ci_u32_e32 v10, vcc_lo, 0, v11, vcc_lo
	s_delay_alu instid0(VALU_DEP_2) | instskip(NEXT) | instid1(VALU_DEP_2)
	v_add_co_u32 v3, vcc_lo, v3, v12
	v_add_co_ci_u32_e32 v3, vcc_lo, v10, v13, vcc_lo
	v_add_co_ci_u32_e32 v10, vcc_lo, 0, v16, vcc_lo
	s_delay_alu instid0(VALU_DEP_2) | instskip(NEXT) | instid1(VALU_DEP_2)
	v_add_co_u32 v3, vcc_lo, v3, v15
	v_add_co_ci_u32_e32 v12, vcc_lo, 0, v10, vcc_lo
	s_delay_alu instid0(VALU_DEP_2) | instskip(SKIP_1) | instid1(VALU_DEP_3)
	v_mul_lo_u32 v13, s9, v3
	v_mad_u64_u32 v[10:11], null, s8, v3, 0
	v_mul_lo_u32 v15, s8, v12
	s_delay_alu instid0(VALU_DEP_2) | instskip(NEXT) | instid1(VALU_DEP_2)
	v_sub_co_u32 v10, vcc_lo, v17, v10
	v_add3_u32 v11, v11, v15, v13
	s_delay_alu instid0(VALU_DEP_1) | instskip(NEXT) | instid1(VALU_DEP_1)
	v_sub_nc_u32_e32 v13, v20, v11
	v_subrev_co_ci_u32_e64 v13, s0, s9, v13, vcc_lo
	v_add_co_u32 v15, s0, v3, 2
	s_delay_alu instid0(VALU_DEP_1) | instskip(SKIP_3) | instid1(VALU_DEP_3)
	v_add_co_ci_u32_e64 v16, s0, 0, v12, s0
	v_sub_co_u32 v17, s0, v10, s8
	v_sub_co_ci_u32_e32 v11, vcc_lo, v20, v11, vcc_lo
	v_subrev_co_ci_u32_e64 v13, s0, 0, v13, s0
	v_cmp_le_u32_e32 vcc_lo, s8, v17
	s_delay_alu instid0(VALU_DEP_3) | instskip(SKIP_1) | instid1(VALU_DEP_4)
	v_cmp_eq_u32_e64 s0, s9, v11
	v_cndmask_b32_e64 v17, 0, -1, vcc_lo
	v_cmp_le_u32_e32 vcc_lo, s9, v13
	v_cndmask_b32_e64 v18, 0, -1, vcc_lo
	v_cmp_le_u32_e32 vcc_lo, s8, v10
	;; [unrolled: 2-line block ×3, first 2 shown]
	v_cndmask_b32_e64 v20, 0, -1, vcc_lo
	v_cmp_eq_u32_e32 vcc_lo, s9, v13
	s_delay_alu instid0(VALU_DEP_2) | instskip(SKIP_3) | instid1(VALU_DEP_3)
	v_cndmask_b32_e64 v10, v20, v10, s0
	v_cndmask_b32_e32 v13, v18, v17, vcc_lo
	v_add_co_u32 v17, vcc_lo, v3, 1
	v_add_co_ci_u32_e32 v18, vcc_lo, 0, v12, vcc_lo
	v_cmp_ne_u32_e32 vcc_lo, 0, v13
	s_delay_alu instid0(VALU_DEP_2) | instskip(NEXT) | instid1(VALU_DEP_4)
	v_cndmask_b32_e32 v11, v18, v16, vcc_lo
	v_cndmask_b32_e32 v13, v17, v15, vcc_lo
	v_cmp_ne_u32_e32 vcc_lo, 0, v10
	v_xor_b32_e32 v15, s6, v19
	s_delay_alu instid0(VALU_DEP_3) | instskip(NEXT) | instid1(VALU_DEP_1)
	v_dual_cndmask_b32 v3, v3, v13 :: v_dual_cndmask_b32 v10, v12, v11
                                        ; implicit-def: $vgpr12_vgpr13
	v_xor_b32_e32 v3, v3, v15
	s_delay_alu instid0(VALU_DEP_2) | instskip(NEXT) | instid1(VALU_DEP_2)
	v_xor_b32_e32 v11, v10, v15
	v_sub_co_u32 v10, vcc_lo, v3, v15
	s_delay_alu instid0(VALU_DEP_2)
	v_sub_co_ci_u32_e32 v11, vcc_lo, v11, v15, vcc_lo
.LBB20_9:                               ;   in Loop: Header=BB20_3 Depth=1
	s_and_not1_saveexec_b32 s0, s5
	s_cbranch_execz .LBB20_11
; %bb.10:                               ;   in Loop: Header=BB20_3 Depth=1
	v_cvt_f32_u32_e32 v3, s24
	s_sub_i32 s5, 0, s24
	s_delay_alu instid0(VALU_DEP_1) | instskip(SKIP_2) | instid1(VALU_DEP_1)
	v_rcp_iflag_f32_e32 v3, v3
	s_waitcnt_depctr 0xfff
	v_mul_f32_e32 v3, 0x4f7ffffe, v3
	v_cvt_u32_f32_e32 v3, v3
	s_delay_alu instid0(VALU_DEP_1) | instskip(NEXT) | instid1(VALU_DEP_1)
	v_mul_lo_u32 v10, s5, v3
	v_mul_hi_u32 v10, v3, v10
	s_delay_alu instid0(VALU_DEP_1) | instskip(NEXT) | instid1(VALU_DEP_1)
	v_add_nc_u32_e32 v3, v3, v10
	v_mul_hi_u32 v3, v12, v3
	s_delay_alu instid0(VALU_DEP_1) | instskip(SKIP_1) | instid1(VALU_DEP_2)
	v_mul_lo_u32 v10, v3, s24
	v_add_nc_u32_e32 v11, 1, v3
	v_sub_nc_u32_e32 v10, v12, v10
	s_delay_alu instid0(VALU_DEP_1) | instskip(SKIP_1) | instid1(VALU_DEP_2)
	v_subrev_nc_u32_e32 v12, s24, v10
	v_cmp_le_u32_e32 vcc_lo, s24, v10
	v_dual_cndmask_b32 v10, v10, v12 :: v_dual_cndmask_b32 v3, v3, v11
	s_delay_alu instid0(VALU_DEP_1) | instskip(NEXT) | instid1(VALU_DEP_2)
	v_cmp_le_u32_e32 vcc_lo, s24, v10
	v_add_nc_u32_e32 v11, 1, v3
	s_delay_alu instid0(VALU_DEP_1)
	v_dual_cndmask_b32 v10, v3, v11 :: v_dual_mov_b32 v11, v2
.LBB20_11:                              ;   in Loop: Header=BB20_3 Depth=1
	s_or_b32 exec_lo, exec_lo, s0
	s_delay_alu instid0(VALU_DEP_1) | instskip(SKIP_1) | instid1(VALU_DEP_1)
	v_or_b32_e32 v3, s23, v11
                                        ; implicit-def: $vgpr12_vgpr13
	s_mov_b32 s0, exec_lo
	v_cmpx_ne_u64_e32 0, v[2:3]
	s_xor_b32 s5, exec_lo, s0
	s_cbranch_execz .LBB20_13
; %bb.12:                               ;   in Loop: Header=BB20_3 Depth=1
	s_ashr_i32 s8, s23, 31
	s_delay_alu instid0(SALU_CYCLE_1) | instskip(SKIP_2) | instid1(SALU_CYCLE_1)
	s_add_u32 s10, s22, s8
	s_mov_b32 s9, s8
	s_addc_u32 s11, s23, s8
	s_xor_b64 s[10:11], s[10:11], s[8:9]
	s_delay_alu instid0(SALU_CYCLE_1) | instskip(SKIP_3) | instid1(VALU_DEP_1)
	v_cvt_f32_u32_e32 v3, s10
	v_cvt_f32_u32_e32 v12, s11
	s_sub_u32 s0, 0, s10
	s_subb_u32 s7, 0, s11
	v_fmac_f32_e32 v3, 0x4f800000, v12
	s_delay_alu instid0(VALU_DEP_1) | instskip(SKIP_2) | instid1(VALU_DEP_1)
	v_rcp_f32_e32 v3, v3
	s_waitcnt_depctr 0xfff
	v_mul_f32_e32 v3, 0x5f7ffffc, v3
	v_mul_f32_e32 v12, 0x2f800000, v3
	s_delay_alu instid0(VALU_DEP_1) | instskip(NEXT) | instid1(VALU_DEP_1)
	v_trunc_f32_e32 v12, v12
	v_fmac_f32_e32 v3, 0xcf800000, v12
	v_cvt_u32_f32_e32 v12, v12
	s_delay_alu instid0(VALU_DEP_2) | instskip(NEXT) | instid1(VALU_DEP_2)
	v_cvt_u32_f32_e32 v3, v3
	v_mul_lo_u32 v13, s0, v12
	s_delay_alu instid0(VALU_DEP_2) | instskip(SKIP_1) | instid1(VALU_DEP_2)
	v_mul_hi_u32 v15, s0, v3
	v_mul_lo_u32 v16, s7, v3
	v_add_nc_u32_e32 v13, v15, v13
	v_mul_lo_u32 v15, s0, v3
	s_delay_alu instid0(VALU_DEP_2) | instskip(NEXT) | instid1(VALU_DEP_2)
	v_add_nc_u32_e32 v13, v13, v16
	v_mul_hi_u32 v16, v3, v15
	s_delay_alu instid0(VALU_DEP_2)
	v_mul_lo_u32 v17, v3, v13
	v_mul_hi_u32 v18, v3, v13
	v_mul_hi_u32 v19, v12, v15
	v_mul_lo_u32 v15, v12, v15
	v_mul_hi_u32 v20, v12, v13
	v_mul_lo_u32 v13, v12, v13
	v_add_co_u32 v16, vcc_lo, v16, v17
	v_add_co_ci_u32_e32 v17, vcc_lo, 0, v18, vcc_lo
	s_delay_alu instid0(VALU_DEP_2) | instskip(NEXT) | instid1(VALU_DEP_2)
	v_add_co_u32 v15, vcc_lo, v16, v15
	v_add_co_ci_u32_e32 v15, vcc_lo, v17, v19, vcc_lo
	v_add_co_ci_u32_e32 v16, vcc_lo, 0, v20, vcc_lo
	v_ashrrev_i32_e32 v19, 31, v11
	s_delay_alu instid0(VALU_DEP_3) | instskip(NEXT) | instid1(VALU_DEP_3)
	v_add_co_u32 v13, vcc_lo, v15, v13
	v_add_co_ci_u32_e32 v15, vcc_lo, 0, v16, vcc_lo
	s_delay_alu instid0(VALU_DEP_2) | instskip(NEXT) | instid1(VALU_DEP_2)
	v_add_co_u32 v3, vcc_lo, v3, v13
	v_add_co_ci_u32_e32 v12, vcc_lo, v12, v15, vcc_lo
	s_delay_alu instid0(VALU_DEP_2) | instskip(SKIP_1) | instid1(VALU_DEP_3)
	v_mul_hi_u32 v13, s0, v3
	v_mul_lo_u32 v16, s7, v3
	v_mul_lo_u32 v15, s0, v12
	s_delay_alu instid0(VALU_DEP_1) | instskip(SKIP_1) | instid1(VALU_DEP_2)
	v_add_nc_u32_e32 v13, v13, v15
	v_mul_lo_u32 v15, s0, v3
	v_add_nc_u32_e32 v13, v13, v16
	s_delay_alu instid0(VALU_DEP_2) | instskip(NEXT) | instid1(VALU_DEP_2)
	v_mul_hi_u32 v16, v3, v15
	v_mul_lo_u32 v17, v3, v13
	v_mul_hi_u32 v18, v3, v13
	v_mul_hi_u32 v20, v12, v15
	v_mul_lo_u32 v15, v12, v15
	v_mul_hi_u32 v21, v12, v13
	v_mul_lo_u32 v13, v12, v13
	v_add_co_u32 v16, vcc_lo, v16, v17
	v_add_co_ci_u32_e32 v17, vcc_lo, 0, v18, vcc_lo
	s_delay_alu instid0(VALU_DEP_2) | instskip(NEXT) | instid1(VALU_DEP_2)
	v_add_co_u32 v15, vcc_lo, v16, v15
	v_add_co_ci_u32_e32 v15, vcc_lo, v17, v20, vcc_lo
	v_add_co_ci_u32_e32 v16, vcc_lo, 0, v21, vcc_lo
	v_add_co_u32 v17, vcc_lo, v10, v19
	v_add_co_ci_u32_e32 v11, vcc_lo, v11, v19, vcc_lo
	s_delay_alu instid0(VALU_DEP_4) | instskip(NEXT) | instid1(VALU_DEP_4)
	v_add_co_u32 v13, vcc_lo, v15, v13
	v_add_co_ci_u32_e32 v15, vcc_lo, 0, v16, vcc_lo
	s_delay_alu instid0(VALU_DEP_4) | instskip(NEXT) | instid1(VALU_DEP_3)
	v_xor_b32_e32 v20, v17, v19
	v_add_co_u32 v3, vcc_lo, v3, v13
	s_delay_alu instid0(VALU_DEP_3) | instskip(SKIP_1) | instid1(VALU_DEP_3)
	v_add_co_ci_u32_e32 v13, vcc_lo, v12, v15, vcc_lo
	v_xor_b32_e32 v21, v11, v19
	v_mul_hi_u32 v22, v20, v3
	s_delay_alu instid0(VALU_DEP_3) | instskip(NEXT) | instid1(VALU_DEP_3)
	v_mad_u64_u32 v[11:12], null, v20, v13, 0
	v_mad_u64_u32 v[15:16], null, v21, v3, 0
	;; [unrolled: 1-line block ×3, first 2 shown]
	s_delay_alu instid0(VALU_DEP_3) | instskip(NEXT) | instid1(VALU_DEP_4)
	v_add_co_u32 v3, vcc_lo, v22, v11
	v_add_co_ci_u32_e32 v11, vcc_lo, 0, v12, vcc_lo
	s_delay_alu instid0(VALU_DEP_2) | instskip(NEXT) | instid1(VALU_DEP_2)
	v_add_co_u32 v3, vcc_lo, v3, v15
	v_add_co_ci_u32_e32 v3, vcc_lo, v11, v16, vcc_lo
	v_add_co_ci_u32_e32 v11, vcc_lo, 0, v18, vcc_lo
	s_delay_alu instid0(VALU_DEP_2) | instskip(NEXT) | instid1(VALU_DEP_2)
	v_add_co_u32 v3, vcc_lo, v3, v17
	v_add_co_ci_u32_e32 v13, vcc_lo, 0, v11, vcc_lo
	s_delay_alu instid0(VALU_DEP_2) | instskip(SKIP_1) | instid1(VALU_DEP_3)
	v_mul_lo_u32 v15, s11, v3
	v_mad_u64_u32 v[11:12], null, s10, v3, 0
	v_mul_lo_u32 v13, s10, v13
	s_delay_alu instid0(VALU_DEP_2) | instskip(NEXT) | instid1(VALU_DEP_2)
	v_sub_co_u32 v11, vcc_lo, v20, v11
	v_add3_u32 v12, v12, v13, v15
	v_add_co_u32 v15, s0, v3, 2
	s_delay_alu instid0(VALU_DEP_2) | instskip(NEXT) | instid1(VALU_DEP_1)
	v_sub_nc_u32_e32 v13, v21, v12
	v_subrev_co_ci_u32_e64 v13, s0, s11, v13, vcc_lo
	v_sub_co_u32 v16, s0, v11, s10
	v_sub_co_ci_u32_e32 v12, vcc_lo, v21, v12, vcc_lo
	s_delay_alu instid0(VALU_DEP_3) | instskip(NEXT) | instid1(VALU_DEP_3)
	v_subrev_co_ci_u32_e64 v13, s0, 0, v13, s0
	v_cmp_le_u32_e32 vcc_lo, s10, v16
	v_cndmask_b32_e64 v16, 0, -1, vcc_lo
	s_delay_alu instid0(VALU_DEP_3)
	v_cmp_le_u32_e32 vcc_lo, s11, v13
	v_cndmask_b32_e64 v17, 0, -1, vcc_lo
	v_cmp_le_u32_e32 vcc_lo, s10, v11
	v_cndmask_b32_e64 v11, 0, -1, vcc_lo
	;; [unrolled: 2-line block ×3, first 2 shown]
	v_cmp_eq_u32_e32 vcc_lo, s11, v13
	v_cndmask_b32_e32 v13, v17, v16, vcc_lo
	v_add_co_u32 v16, vcc_lo, v3, 1
	v_cmp_eq_u32_e32 vcc_lo, s11, v12
	v_cndmask_b32_e32 v11, v18, v11, vcc_lo
	s_delay_alu instid0(VALU_DEP_4) | instskip(NEXT) | instid1(VALU_DEP_4)
	v_cmp_ne_u32_e32 vcc_lo, 0, v13
	v_cndmask_b32_e32 v12, v16, v15, vcc_lo
	s_delay_alu instid0(VALU_DEP_3) | instskip(SKIP_1) | instid1(VALU_DEP_3)
	v_cmp_ne_u32_e32 vcc_lo, 0, v11
	v_xor_b32_e32 v11, s8, v19
	v_cndmask_b32_e32 v3, v3, v12, vcc_lo
	s_delay_alu instid0(VALU_DEP_1) | instskip(NEXT) | instid1(VALU_DEP_1)
	v_xor_b32_e32 v3, v3, v11
	v_sub_co_u32 v12, vcc_lo, v3, v11
.LBB20_13:                              ;   in Loop: Header=BB20_3 Depth=1
	s_and_not1_saveexec_b32 s0, s5
	s_cbranch_execz .LBB20_2
; %bb.14:                               ;   in Loop: Header=BB20_3 Depth=1
	v_cvt_f32_u32_e32 v3, s22
	s_sub_i32 s5, 0, s22
	s_delay_alu instid0(VALU_DEP_1) | instskip(SKIP_2) | instid1(VALU_DEP_1)
	v_rcp_iflag_f32_e32 v3, v3
	s_waitcnt_depctr 0xfff
	v_mul_f32_e32 v3, 0x4f7ffffe, v3
	v_cvt_u32_f32_e32 v3, v3
	s_delay_alu instid0(VALU_DEP_1) | instskip(NEXT) | instid1(VALU_DEP_1)
	v_mul_lo_u32 v11, s5, v3
	v_mul_hi_u32 v11, v3, v11
	s_delay_alu instid0(VALU_DEP_1) | instskip(NEXT) | instid1(VALU_DEP_1)
	v_add_nc_u32_e32 v3, v3, v11
	v_mul_hi_u32 v3, v10, v3
	s_delay_alu instid0(VALU_DEP_1) | instskip(NEXT) | instid1(VALU_DEP_1)
	v_mul_lo_u32 v11, v3, s22
	v_sub_nc_u32_e32 v11, v10, v11
	s_delay_alu instid0(VALU_DEP_1) | instskip(SKIP_1) | instid1(VALU_DEP_2)
	v_subrev_nc_u32_e32 v13, s22, v11
	v_cmp_le_u32_e32 vcc_lo, s22, v11
	v_dual_cndmask_b32 v11, v11, v13 :: v_dual_add_nc_u32 v12, 1, v3
	s_delay_alu instid0(VALU_DEP_1) | instskip(NEXT) | instid1(VALU_DEP_2)
	v_cndmask_b32_e32 v3, v3, v12, vcc_lo
	v_cmp_le_u32_e32 vcc_lo, s22, v11
	s_delay_alu instid0(VALU_DEP_2) | instskip(NEXT) | instid1(VALU_DEP_1)
	v_add_nc_u32_e32 v12, 1, v3
	v_cndmask_b32_e32 v12, v3, v12, vcc_lo
	s_branch .LBB20_2
.LBB20_15:
	s_nop 0
	s_sendmsg sendmsg(MSG_DEALLOC_VGPRS)
	s_endpgm
	.section	.rodata,"a",@progbits
	.p2align	6, 0x0
	.amdhsa_kernel _ZN2at6native31max_unpooling2d_backward_kernelIiEEvlPKT_PKllllllPS2_
		.amdhsa_group_segment_fixed_size 0
		.amdhsa_private_segment_fixed_size 0
		.amdhsa_kernarg_size 328
		.amdhsa_user_sgpr_count 15
		.amdhsa_user_sgpr_dispatch_ptr 0
		.amdhsa_user_sgpr_queue_ptr 0
		.amdhsa_user_sgpr_kernarg_segment_ptr 1
		.amdhsa_user_sgpr_dispatch_id 0
		.amdhsa_user_sgpr_private_segment_size 0
		.amdhsa_wavefront_size32 1
		.amdhsa_uses_dynamic_stack 0
		.amdhsa_enable_private_segment 0
		.amdhsa_system_sgpr_workgroup_id_x 1
		.amdhsa_system_sgpr_workgroup_id_y 0
		.amdhsa_system_sgpr_workgroup_id_z 0
		.amdhsa_system_sgpr_workgroup_info 0
		.amdhsa_system_vgpr_workitem_id 0
		.amdhsa_next_free_vgpr 23
		.amdhsa_next_free_sgpr 32
		.amdhsa_reserve_vcc 1
		.amdhsa_float_round_mode_32 0
		.amdhsa_float_round_mode_16_64 0
		.amdhsa_float_denorm_mode_32 3
		.amdhsa_float_denorm_mode_16_64 3
		.amdhsa_dx10_clamp 1
		.amdhsa_ieee_mode 1
		.amdhsa_fp16_overflow 0
		.amdhsa_workgroup_processor_mode 1
		.amdhsa_memory_ordered 1
		.amdhsa_forward_progress 0
		.amdhsa_shared_vgpr_count 0
		.amdhsa_exception_fp_ieee_invalid_op 0
		.amdhsa_exception_fp_denorm_src 0
		.amdhsa_exception_fp_ieee_div_zero 0
		.amdhsa_exception_fp_ieee_overflow 0
		.amdhsa_exception_fp_ieee_underflow 0
		.amdhsa_exception_fp_ieee_inexact 0
		.amdhsa_exception_int_div_zero 0
	.end_amdhsa_kernel
	.section	.text._ZN2at6native31max_unpooling2d_backward_kernelIiEEvlPKT_PKllllllPS2_,"axG",@progbits,_ZN2at6native31max_unpooling2d_backward_kernelIiEEvlPKT_PKllllllPS2_,comdat
.Lfunc_end20:
	.size	_ZN2at6native31max_unpooling2d_backward_kernelIiEEvlPKT_PKllllllPS2_, .Lfunc_end20-_ZN2at6native31max_unpooling2d_backward_kernelIiEEvlPKT_PKllllllPS2_
                                        ; -- End function
	.section	.AMDGPU.csdata,"",@progbits
; Kernel info:
; codeLenInByte = 3388
; NumSgprs: 34
; NumVgprs: 23
; ScratchSize: 0
; MemoryBound: 0
; FloatMode: 240
; IeeeMode: 1
; LDSByteSize: 0 bytes/workgroup (compile time only)
; SGPRBlocks: 4
; VGPRBlocks: 2
; NumSGPRsForWavesPerEU: 34
; NumVGPRsForWavesPerEU: 23
; Occupancy: 16
; WaveLimiterHint : 1
; COMPUTE_PGM_RSRC2:SCRATCH_EN: 0
; COMPUTE_PGM_RSRC2:USER_SGPR: 15
; COMPUTE_PGM_RSRC2:TRAP_HANDLER: 0
; COMPUTE_PGM_RSRC2:TGID_X_EN: 1
; COMPUTE_PGM_RSRC2:TGID_Y_EN: 0
; COMPUTE_PGM_RSRC2:TGID_Z_EN: 0
; COMPUTE_PGM_RSRC2:TIDIG_COMP_CNT: 0
	.section	.text._ZN2at6native31max_unpooling2d_backward_kernelIlEEvlPKT_PKllllllPS2_,"axG",@progbits,_ZN2at6native31max_unpooling2d_backward_kernelIlEEvlPKT_PKllllllPS2_,comdat
	.protected	_ZN2at6native31max_unpooling2d_backward_kernelIlEEvlPKT_PKllllllPS2_ ; -- Begin function _ZN2at6native31max_unpooling2d_backward_kernelIlEEvlPKT_PKllllllPS2_
	.globl	_ZN2at6native31max_unpooling2d_backward_kernelIlEEvlPKT_PKllllllPS2_
	.p2align	8
	.type	_ZN2at6native31max_unpooling2d_backward_kernelIlEEvlPKT_PKllllllPS2_,@function
_ZN2at6native31max_unpooling2d_backward_kernelIlEEvlPKT_PKllllllPS2_: ; @_ZN2at6native31max_unpooling2d_backward_kernelIlEEvlPKT_PKllllllPS2_
; %bb.0:
	s_clause 0x1
	s_load_b32 s4, s[0:1], 0x54
	s_load_b512 s[16:31], s[0:1], 0x0
	v_mov_b32_e32 v2, 0
	s_add_u32 s2, s0, 0x48
	s_addc_u32 s3, s1, 0
	s_mov_b32 s5, exec_lo
	s_delay_alu instid0(VALU_DEP_1)
	v_mov_b32_e32 v1, v2
	s_waitcnt lgkmcnt(0)
	s_and_b32 s4, s4, 0xffff
	s_delay_alu instid0(VALU_DEP_1) | instid1(SALU_CYCLE_1)
	v_mad_u64_u32 v[4:5], null, s4, s15, v[0:1]
	s_delay_alu instid0(VALU_DEP_1)
	v_cmpx_gt_i64_e64 s[16:17], v[4:5]
	s_cbranch_execz .LBB21_15
; %bb.1:
	v_cvt_f32_u32_e32 v0, s26
	s_load_b32 s5, s[2:3], 0x0
	s_sub_i32 s2, 0, s26
	s_mul_hi_u32 s6, s30, s28
	s_mul_i32 s7, s31, s28
	v_rcp_iflag_f32_e32 v0, v0
	s_mov_b32 s12, 0
	s_waitcnt_depctr 0xfff
	v_dual_mov_b32 v3, v4 :: v_dual_mul_f32 v0, 0x4f7ffffe, v0
	s_delay_alu instid0(VALU_DEP_1)
	v_cvt_u32_f32_e32 v6, v0
	s_waitcnt lgkmcnt(0)
	s_mul_i32 s14, s5, s4
	s_ashr_i32 s4, s27, 31
	s_mov_b32 s15, s14
	v_mul_lo_u32 v0, s2, v6
	s_load_b64 s[2:3], s[0:1], 0x40
	s_mul_i32 s0, s30, s29
	s_mul_i32 s1, s30, s28
	s_add_i32 s0, s6, s0
	s_ashr_i32 s6, s25, 31
	s_add_i32 s13, s0, s7
	s_delay_alu instid0(VALU_DEP_1) | instskip(SKIP_1) | instid1(VALU_DEP_2)
	v_mul_hi_u32 v7, v6, v0
	v_dual_mov_b32 v0, s18 :: v_dual_mov_b32 v1, s19
	v_dual_mov_b32 v7, v3 :: v_dual_add_nc_u32 v14, v6, v7
	v_mov_b32_e32 v6, v2
	s_branch .LBB21_3
.LBB21_2:                               ;   in Loop: Header=BB21_3 Depth=1
	s_or_b32 exec_lo, exec_lo, s0
	v_lshlrev_b64 v[8:9], 3, v[8:9]
	s_delay_alu instid0(VALU_DEP_2)
	v_mul_lo_u32 v11, v12, s22
	v_ashrrev_i32_e32 v13, 31, v12
	v_mul_lo_u32 v17, v12, s23
	v_add_co_u32 v6, s0, v6, 0
	v_add_co_u32 v15, vcc_lo, s20, v8
	v_add_co_ci_u32_e32 v16, vcc_lo, s21, v9, vcc_lo
	v_sub_nc_u32_e32 v10, v10, v11
	v_mul_lo_u32 v13, v13, s22
	v_add_co_ci_u32_e64 v7, s0, s15, v7, s0
	global_load_b32 v3, v[15:16], off
	v_ashrrev_i32_e32 v11, 31, v10
	s_delay_alu instid0(VALU_DEP_1) | instskip(NEXT) | instid1(VALU_DEP_1)
	v_mad_u64_u32 v[15:16], null, v12, s22, v[10:11]
	v_add3_u32 v12, v13, v16, v17
	s_delay_alu instid0(VALU_DEP_2) | instskip(SKIP_1) | instid1(VALU_DEP_3)
	v_mul_lo_u32 v13, s13, v15
	v_mad_u64_u32 v[10:11], null, s1, v15, 0
	v_mul_lo_u32 v12, s1, v12
	s_delay_alu instid0(VALU_DEP_1) | instskip(NEXT) | instid1(VALU_DEP_1)
	v_add3_u32 v11, v11, v12, v13
	v_lshlrev_b64 v[10:11], 3, v[10:11]
	s_delay_alu instid0(VALU_DEP_1) | instskip(NEXT) | instid1(VALU_DEP_2)
	v_add_co_u32 v0, vcc_lo, v0, v10
	v_add_co_ci_u32_e32 v1, vcc_lo, v1, v11, vcc_lo
	s_waitcnt vmcnt(0)
	v_ashrrev_i64 v[12:13], 29, v[2:3]
	s_delay_alu instid0(VALU_DEP_1) | instskip(NEXT) | instid1(VALU_DEP_2)
	v_add_co_u32 v10, vcc_lo, v0, v12
	v_add_co_ci_u32_e32 v11, vcc_lo, v1, v13, vcc_lo
	v_add_co_u32 v4, vcc_lo, v4, s14
	v_add_co_ci_u32_e32 v5, vcc_lo, 0, v5, vcc_lo
	global_load_b64 v[10:11], v[10:11], off
	s_waitcnt lgkmcnt(0)
	v_add_co_u32 v8, vcc_lo, s2, v8
	v_add_co_ci_u32_e32 v9, vcc_lo, s3, v9, vcc_lo
	v_cmp_le_i64_e32 vcc_lo, s[16:17], v[4:5]
	s_or_b32 s12, vcc_lo, s12
	s_waitcnt vmcnt(0)
	global_store_b64 v[8:9], v[10:11], off
	s_and_not1_b32 exec_lo, exec_lo, s12
	s_cbranch_execz .LBB21_15
.LBB21_3:                               ; =>This Inner Loop Header: Depth=1
	s_delay_alu instid0(VALU_DEP_2) | instskip(SKIP_2) | instid1(VALU_DEP_2)
	v_ashrrev_i32_e32 v9, 31, v7
	v_mov_b32_e32 v8, v7
                                        ; implicit-def: $vgpr12_vgpr13
	s_mov_b32 s0, exec_lo
	v_or_b32_e32 v3, s27, v9
	s_delay_alu instid0(VALU_DEP_1)
	v_cmpx_ne_u64_e32 0, v[2:3]
	s_xor_b32 s7, exec_lo, s0
	s_cbranch_execz .LBB21_5
; %bb.4:                                ;   in Loop: Header=BB21_3 Depth=1
	s_add_u32 s8, s26, s4
	s_mov_b32 s5, s4
	s_addc_u32 s9, s27, s4
	s_delay_alu instid0(SALU_CYCLE_1) | instskip(NEXT) | instid1(SALU_CYCLE_1)
	s_xor_b64 s[8:9], s[8:9], s[4:5]
	v_cvt_f32_u32_e32 v3, s8
	v_cvt_f32_u32_e32 v10, s9
	s_sub_u32 s0, 0, s8
	s_subb_u32 s5, 0, s9
	s_delay_alu instid0(VALU_DEP_1) | instskip(NEXT) | instid1(VALU_DEP_1)
	v_fmac_f32_e32 v3, 0x4f800000, v10
	v_rcp_f32_e32 v3, v3
	s_waitcnt_depctr 0xfff
	v_mul_f32_e32 v3, 0x5f7ffffc, v3
	s_delay_alu instid0(VALU_DEP_1) | instskip(NEXT) | instid1(VALU_DEP_1)
	v_mul_f32_e32 v10, 0x2f800000, v3
	v_trunc_f32_e32 v10, v10
	s_delay_alu instid0(VALU_DEP_1) | instskip(SKIP_1) | instid1(VALU_DEP_2)
	v_fmac_f32_e32 v3, 0xcf800000, v10
	v_cvt_u32_f32_e32 v10, v10
	v_cvt_u32_f32_e32 v3, v3
	s_delay_alu instid0(VALU_DEP_2) | instskip(NEXT) | instid1(VALU_DEP_2)
	v_mul_lo_u32 v11, s0, v10
	v_mul_hi_u32 v12, s0, v3
	v_mul_lo_u32 v13, s5, v3
	s_delay_alu instid0(VALU_DEP_2) | instskip(SKIP_1) | instid1(VALU_DEP_2)
	v_add_nc_u32_e32 v11, v12, v11
	v_mul_lo_u32 v12, s0, v3
	v_add_nc_u32_e32 v11, v11, v13
	s_delay_alu instid0(VALU_DEP_2) | instskip(NEXT) | instid1(VALU_DEP_2)
	v_mul_hi_u32 v13, v3, v12
	v_mul_lo_u32 v15, v3, v11
	v_mul_hi_u32 v16, v3, v11
	v_mul_hi_u32 v17, v10, v12
	v_mul_lo_u32 v12, v10, v12
	v_mul_hi_u32 v18, v10, v11
	v_mul_lo_u32 v11, v10, v11
	v_add_co_u32 v13, vcc_lo, v13, v15
	v_add_co_ci_u32_e32 v15, vcc_lo, 0, v16, vcc_lo
	s_delay_alu instid0(VALU_DEP_2) | instskip(NEXT) | instid1(VALU_DEP_2)
	v_add_co_u32 v12, vcc_lo, v13, v12
	v_add_co_ci_u32_e32 v12, vcc_lo, v15, v17, vcc_lo
	v_add_co_ci_u32_e32 v13, vcc_lo, 0, v18, vcc_lo
	v_ashrrev_i32_e32 v17, 31, v9
	s_delay_alu instid0(VALU_DEP_3) | instskip(NEXT) | instid1(VALU_DEP_3)
	v_add_co_u32 v11, vcc_lo, v12, v11
	v_add_co_ci_u32_e32 v12, vcc_lo, 0, v13, vcc_lo
	s_delay_alu instid0(VALU_DEP_2) | instskip(NEXT) | instid1(VALU_DEP_2)
	v_add_co_u32 v3, vcc_lo, v3, v11
	v_add_co_ci_u32_e32 v10, vcc_lo, v10, v12, vcc_lo
	s_delay_alu instid0(VALU_DEP_2) | instskip(SKIP_1) | instid1(VALU_DEP_3)
	v_mul_hi_u32 v11, s0, v3
	v_mul_lo_u32 v13, s5, v3
	v_mul_lo_u32 v12, s0, v10
	s_delay_alu instid0(VALU_DEP_1) | instskip(SKIP_1) | instid1(VALU_DEP_2)
	v_add_nc_u32_e32 v11, v11, v12
	v_mul_lo_u32 v12, s0, v3
	v_add_nc_u32_e32 v11, v11, v13
	s_delay_alu instid0(VALU_DEP_2) | instskip(NEXT) | instid1(VALU_DEP_2)
	v_mul_hi_u32 v13, v3, v12
	v_mul_lo_u32 v15, v3, v11
	v_mul_hi_u32 v16, v3, v11
	v_mul_hi_u32 v18, v10, v12
	v_mul_lo_u32 v12, v10, v12
	v_mul_hi_u32 v19, v10, v11
	v_mul_lo_u32 v11, v10, v11
	v_add_co_u32 v13, vcc_lo, v13, v15
	v_add_co_ci_u32_e32 v15, vcc_lo, 0, v16, vcc_lo
	s_delay_alu instid0(VALU_DEP_2) | instskip(NEXT) | instid1(VALU_DEP_2)
	v_add_co_u32 v12, vcc_lo, v13, v12
	v_add_co_ci_u32_e32 v12, vcc_lo, v15, v18, vcc_lo
	v_add_co_ci_u32_e32 v13, vcc_lo, 0, v19, vcc_lo
	v_add_co_u32 v15, vcc_lo, v8, v17
	v_add_co_ci_u32_e32 v16, vcc_lo, v9, v17, vcc_lo
	s_delay_alu instid0(VALU_DEP_4) | instskip(NEXT) | instid1(VALU_DEP_4)
	v_add_co_u32 v11, vcc_lo, v12, v11
	v_add_co_ci_u32_e32 v12, vcc_lo, 0, v13, vcc_lo
	s_delay_alu instid0(VALU_DEP_4) | instskip(NEXT) | instid1(VALU_DEP_3)
	v_xor_b32_e32 v18, v15, v17
	v_add_co_u32 v3, vcc_lo, v3, v11
	s_delay_alu instid0(VALU_DEP_3) | instskip(SKIP_1) | instid1(VALU_DEP_3)
	v_add_co_ci_u32_e32 v19, vcc_lo, v10, v12, vcc_lo
	v_xor_b32_e32 v20, v16, v17
	v_mul_hi_u32 v21, v18, v3
	s_delay_alu instid0(VALU_DEP_3) | instskip(NEXT) | instid1(VALU_DEP_3)
	v_mad_u64_u32 v[10:11], null, v18, v19, 0
	v_mad_u64_u32 v[12:13], null, v20, v3, 0
	;; [unrolled: 1-line block ×3, first 2 shown]
	s_delay_alu instid0(VALU_DEP_3) | instskip(NEXT) | instid1(VALU_DEP_4)
	v_add_co_u32 v3, vcc_lo, v21, v10
	v_add_co_ci_u32_e32 v10, vcc_lo, 0, v11, vcc_lo
	s_delay_alu instid0(VALU_DEP_2) | instskip(NEXT) | instid1(VALU_DEP_2)
	v_add_co_u32 v3, vcc_lo, v3, v12
	v_add_co_ci_u32_e32 v3, vcc_lo, v10, v13, vcc_lo
	v_add_co_ci_u32_e32 v10, vcc_lo, 0, v16, vcc_lo
	s_delay_alu instid0(VALU_DEP_2) | instskip(NEXT) | instid1(VALU_DEP_2)
	v_add_co_u32 v3, vcc_lo, v3, v15
	v_add_co_ci_u32_e32 v12, vcc_lo, 0, v10, vcc_lo
	s_delay_alu instid0(VALU_DEP_2) | instskip(SKIP_1) | instid1(VALU_DEP_3)
	v_mul_lo_u32 v13, s9, v3
	v_mad_u64_u32 v[10:11], null, s8, v3, 0
	v_mul_lo_u32 v15, s8, v12
	s_delay_alu instid0(VALU_DEP_2) | instskip(NEXT) | instid1(VALU_DEP_2)
	v_sub_co_u32 v10, vcc_lo, v18, v10
	v_add3_u32 v11, v11, v15, v13
	s_delay_alu instid0(VALU_DEP_1) | instskip(NEXT) | instid1(VALU_DEP_1)
	v_sub_nc_u32_e32 v13, v20, v11
	v_subrev_co_ci_u32_e64 v13, s0, s9, v13, vcc_lo
	v_add_co_u32 v15, s0, v3, 2
	s_delay_alu instid0(VALU_DEP_1) | instskip(SKIP_3) | instid1(VALU_DEP_3)
	v_add_co_ci_u32_e64 v16, s0, 0, v12, s0
	v_sub_co_u32 v18, s0, v10, s8
	v_sub_co_ci_u32_e32 v11, vcc_lo, v20, v11, vcc_lo
	v_subrev_co_ci_u32_e64 v13, s0, 0, v13, s0
	v_cmp_le_u32_e32 vcc_lo, s8, v18
	s_delay_alu instid0(VALU_DEP_3) | instskip(SKIP_1) | instid1(VALU_DEP_4)
	v_cmp_eq_u32_e64 s0, s9, v11
	v_cndmask_b32_e64 v18, 0, -1, vcc_lo
	v_cmp_le_u32_e32 vcc_lo, s9, v13
	v_cndmask_b32_e64 v19, 0, -1, vcc_lo
	v_cmp_le_u32_e32 vcc_lo, s8, v10
	v_cndmask_b32_e64 v10, 0, -1, vcc_lo
	v_cmp_le_u32_e32 vcc_lo, s9, v11
	v_cndmask_b32_e64 v20, 0, -1, vcc_lo
	v_cmp_eq_u32_e32 vcc_lo, s9, v13
	s_delay_alu instid0(VALU_DEP_2) | instskip(SKIP_3) | instid1(VALU_DEP_3)
	v_cndmask_b32_e64 v10, v20, v10, s0
	v_cndmask_b32_e32 v13, v19, v18, vcc_lo
	v_add_co_u32 v18, vcc_lo, v3, 1
	v_add_co_ci_u32_e32 v19, vcc_lo, 0, v12, vcc_lo
	v_cmp_ne_u32_e32 vcc_lo, 0, v13
	s_delay_alu instid0(VALU_DEP_2) | instskip(NEXT) | instid1(VALU_DEP_4)
	v_cndmask_b32_e32 v11, v19, v16, vcc_lo
	v_cndmask_b32_e32 v13, v18, v15, vcc_lo
	v_cmp_ne_u32_e32 vcc_lo, 0, v10
	v_xor_b32_e32 v10, s4, v17
	s_delay_alu instid0(VALU_DEP_3) | instskip(SKIP_1) | instid1(VALU_DEP_2)
	v_cndmask_b32_e32 v3, v3, v13, vcc_lo
	v_cndmask_b32_e32 v11, v12, v11, vcc_lo
	v_xor_b32_e32 v3, v3, v10
	s_delay_alu instid0(VALU_DEP_2) | instskip(NEXT) | instid1(VALU_DEP_2)
	v_xor_b32_e32 v11, v11, v10
	v_sub_co_u32 v12, vcc_lo, v3, v10
	s_delay_alu instid0(VALU_DEP_2)
	v_sub_co_ci_u32_e32 v13, vcc_lo, v11, v10, vcc_lo
.LBB21_5:                               ;   in Loop: Header=BB21_3 Depth=1
	s_and_not1_saveexec_b32 s0, s7
; %bb.6:                                ;   in Loop: Header=BB21_3 Depth=1
	v_mul_hi_u32 v3, v7, v14
	v_mov_b32_e32 v13, v2
	s_delay_alu instid0(VALU_DEP_2) | instskip(NEXT) | instid1(VALU_DEP_1)
	v_mul_lo_u32 v10, v3, s26
	v_sub_nc_u32_e32 v10, v7, v10
	s_delay_alu instid0(VALU_DEP_1) | instskip(SKIP_1) | instid1(VALU_DEP_2)
	v_subrev_nc_u32_e32 v12, s26, v10
	v_cmp_le_u32_e32 vcc_lo, s26, v10
	v_dual_cndmask_b32 v10, v10, v12 :: v_dual_add_nc_u32 v11, 1, v3
	s_delay_alu instid0(VALU_DEP_1) | instskip(NEXT) | instid1(VALU_DEP_2)
	v_cndmask_b32_e32 v3, v3, v11, vcc_lo
	v_cmp_le_u32_e32 vcc_lo, s26, v10
	s_delay_alu instid0(VALU_DEP_2) | instskip(NEXT) | instid1(VALU_DEP_1)
	v_add_nc_u32_e32 v11, 1, v3
	v_cndmask_b32_e32 v12, v3, v11, vcc_lo
; %bb.7:                                ;   in Loop: Header=BB21_3 Depth=1
	s_or_b32 exec_lo, exec_lo, s0
	v_or_b32_e32 v3, s25, v13
                                        ; implicit-def: $vgpr10_vgpr11
	s_mov_b32 s0, exec_lo
	s_delay_alu instid0(VALU_DEP_1)
	v_cmpx_ne_u64_e32 0, v[2:3]
	s_xor_b32 s5, exec_lo, s0
	s_cbranch_execz .LBB21_9
; %bb.8:                                ;   in Loop: Header=BB21_3 Depth=1
	s_add_u32 s8, s24, s6
	s_mov_b32 s7, s6
	s_addc_u32 s9, s25, s6
	s_delay_alu instid0(SALU_CYCLE_1) | instskip(NEXT) | instid1(SALU_CYCLE_1)
	s_xor_b64 s[8:9], s[8:9], s[6:7]
	v_cvt_f32_u32_e32 v3, s8
	v_cvt_f32_u32_e32 v10, s9
	s_sub_u32 s0, 0, s8
	s_subb_u32 s7, 0, s9
	s_delay_alu instid0(VALU_DEP_1) | instskip(NEXT) | instid1(VALU_DEP_1)
	v_fmac_f32_e32 v3, 0x4f800000, v10
	v_rcp_f32_e32 v3, v3
	s_waitcnt_depctr 0xfff
	v_mul_f32_e32 v3, 0x5f7ffffc, v3
	s_delay_alu instid0(VALU_DEP_1) | instskip(NEXT) | instid1(VALU_DEP_1)
	v_mul_f32_e32 v10, 0x2f800000, v3
	v_trunc_f32_e32 v10, v10
	s_delay_alu instid0(VALU_DEP_1) | instskip(SKIP_1) | instid1(VALU_DEP_2)
	v_fmac_f32_e32 v3, 0xcf800000, v10
	v_cvt_u32_f32_e32 v10, v10
	v_cvt_u32_f32_e32 v3, v3
	s_delay_alu instid0(VALU_DEP_2) | instskip(NEXT) | instid1(VALU_DEP_2)
	v_mul_lo_u32 v11, s0, v10
	v_mul_hi_u32 v15, s0, v3
	v_mul_lo_u32 v16, s7, v3
	s_delay_alu instid0(VALU_DEP_2) | instskip(SKIP_1) | instid1(VALU_DEP_2)
	v_add_nc_u32_e32 v11, v15, v11
	v_mul_lo_u32 v15, s0, v3
	v_add_nc_u32_e32 v11, v11, v16
	s_delay_alu instid0(VALU_DEP_2) | instskip(NEXT) | instid1(VALU_DEP_2)
	v_mul_hi_u32 v16, v3, v15
	v_mul_lo_u32 v17, v3, v11
	v_mul_hi_u32 v18, v3, v11
	v_mul_hi_u32 v19, v10, v15
	v_mul_lo_u32 v15, v10, v15
	v_mul_hi_u32 v20, v10, v11
	v_mul_lo_u32 v11, v10, v11
	v_add_co_u32 v16, vcc_lo, v16, v17
	v_add_co_ci_u32_e32 v17, vcc_lo, 0, v18, vcc_lo
	s_delay_alu instid0(VALU_DEP_2) | instskip(NEXT) | instid1(VALU_DEP_2)
	v_add_co_u32 v15, vcc_lo, v16, v15
	v_add_co_ci_u32_e32 v15, vcc_lo, v17, v19, vcc_lo
	v_add_co_ci_u32_e32 v16, vcc_lo, 0, v20, vcc_lo
	v_ashrrev_i32_e32 v19, 31, v13
	s_delay_alu instid0(VALU_DEP_3) | instskip(NEXT) | instid1(VALU_DEP_3)
	v_add_co_u32 v11, vcc_lo, v15, v11
	v_add_co_ci_u32_e32 v15, vcc_lo, 0, v16, vcc_lo
	s_delay_alu instid0(VALU_DEP_2) | instskip(NEXT) | instid1(VALU_DEP_2)
	v_add_co_u32 v3, vcc_lo, v3, v11
	v_add_co_ci_u32_e32 v10, vcc_lo, v10, v15, vcc_lo
	s_delay_alu instid0(VALU_DEP_2) | instskip(SKIP_1) | instid1(VALU_DEP_3)
	v_mul_hi_u32 v11, s0, v3
	v_mul_lo_u32 v16, s7, v3
	v_mul_lo_u32 v15, s0, v10
	s_delay_alu instid0(VALU_DEP_1) | instskip(SKIP_1) | instid1(VALU_DEP_2)
	v_add_nc_u32_e32 v11, v11, v15
	v_mul_lo_u32 v15, s0, v3
	v_add_nc_u32_e32 v11, v11, v16
	s_delay_alu instid0(VALU_DEP_2) | instskip(NEXT) | instid1(VALU_DEP_2)
	v_mul_hi_u32 v16, v3, v15
	v_mul_lo_u32 v17, v3, v11
	v_mul_hi_u32 v18, v3, v11
	v_mul_hi_u32 v20, v10, v15
	v_mul_lo_u32 v15, v10, v15
	v_mul_hi_u32 v21, v10, v11
	v_mul_lo_u32 v11, v10, v11
	v_add_co_u32 v16, vcc_lo, v16, v17
	v_add_co_ci_u32_e32 v17, vcc_lo, 0, v18, vcc_lo
	s_delay_alu instid0(VALU_DEP_2) | instskip(NEXT) | instid1(VALU_DEP_2)
	v_add_co_u32 v15, vcc_lo, v16, v15
	v_add_co_ci_u32_e32 v15, vcc_lo, v17, v20, vcc_lo
	v_add_co_ci_u32_e32 v16, vcc_lo, 0, v21, vcc_lo
	v_add_co_u32 v12, vcc_lo, v12, v19
	v_add_co_ci_u32_e32 v13, vcc_lo, v13, v19, vcc_lo
	s_delay_alu instid0(VALU_DEP_4) | instskip(NEXT) | instid1(VALU_DEP_4)
	v_add_co_u32 v11, vcc_lo, v15, v11
	v_add_co_ci_u32_e32 v15, vcc_lo, 0, v16, vcc_lo
	s_delay_alu instid0(VALU_DEP_4) | instskip(NEXT) | instid1(VALU_DEP_3)
	v_xor_b32_e32 v17, v12, v19
	v_add_co_u32 v3, vcc_lo, v3, v11
	s_delay_alu instid0(VALU_DEP_3) | instskip(SKIP_1) | instid1(VALU_DEP_3)
	v_add_co_ci_u32_e32 v18, vcc_lo, v10, v15, vcc_lo
	v_xor_b32_e32 v20, v13, v19
	v_mul_hi_u32 v21, v17, v3
	s_delay_alu instid0(VALU_DEP_3) | instskip(NEXT) | instid1(VALU_DEP_3)
	v_mad_u64_u32 v[10:11], null, v17, v18, 0
	v_mad_u64_u32 v[12:13], null, v20, v3, 0
	;; [unrolled: 1-line block ×3, first 2 shown]
	s_delay_alu instid0(VALU_DEP_3) | instskip(NEXT) | instid1(VALU_DEP_4)
	v_add_co_u32 v3, vcc_lo, v21, v10
	v_add_co_ci_u32_e32 v10, vcc_lo, 0, v11, vcc_lo
	s_delay_alu instid0(VALU_DEP_2) | instskip(NEXT) | instid1(VALU_DEP_2)
	v_add_co_u32 v3, vcc_lo, v3, v12
	v_add_co_ci_u32_e32 v3, vcc_lo, v10, v13, vcc_lo
	v_add_co_ci_u32_e32 v10, vcc_lo, 0, v16, vcc_lo
	s_delay_alu instid0(VALU_DEP_2) | instskip(NEXT) | instid1(VALU_DEP_2)
	v_add_co_u32 v3, vcc_lo, v3, v15
	v_add_co_ci_u32_e32 v12, vcc_lo, 0, v10, vcc_lo
	s_delay_alu instid0(VALU_DEP_2) | instskip(SKIP_1) | instid1(VALU_DEP_3)
	v_mul_lo_u32 v13, s9, v3
	v_mad_u64_u32 v[10:11], null, s8, v3, 0
	v_mul_lo_u32 v15, s8, v12
	s_delay_alu instid0(VALU_DEP_2) | instskip(NEXT) | instid1(VALU_DEP_2)
	v_sub_co_u32 v10, vcc_lo, v17, v10
	v_add3_u32 v11, v11, v15, v13
	s_delay_alu instid0(VALU_DEP_1) | instskip(NEXT) | instid1(VALU_DEP_1)
	v_sub_nc_u32_e32 v13, v20, v11
	v_subrev_co_ci_u32_e64 v13, s0, s9, v13, vcc_lo
	v_add_co_u32 v15, s0, v3, 2
	s_delay_alu instid0(VALU_DEP_1) | instskip(SKIP_3) | instid1(VALU_DEP_3)
	v_add_co_ci_u32_e64 v16, s0, 0, v12, s0
	v_sub_co_u32 v17, s0, v10, s8
	v_sub_co_ci_u32_e32 v11, vcc_lo, v20, v11, vcc_lo
	v_subrev_co_ci_u32_e64 v13, s0, 0, v13, s0
	v_cmp_le_u32_e32 vcc_lo, s8, v17
	s_delay_alu instid0(VALU_DEP_3) | instskip(SKIP_1) | instid1(VALU_DEP_4)
	v_cmp_eq_u32_e64 s0, s9, v11
	v_cndmask_b32_e64 v17, 0, -1, vcc_lo
	v_cmp_le_u32_e32 vcc_lo, s9, v13
	v_cndmask_b32_e64 v18, 0, -1, vcc_lo
	v_cmp_le_u32_e32 vcc_lo, s8, v10
	;; [unrolled: 2-line block ×3, first 2 shown]
	v_cndmask_b32_e64 v20, 0, -1, vcc_lo
	v_cmp_eq_u32_e32 vcc_lo, s9, v13
	s_delay_alu instid0(VALU_DEP_2) | instskip(SKIP_3) | instid1(VALU_DEP_3)
	v_cndmask_b32_e64 v10, v20, v10, s0
	v_cndmask_b32_e32 v13, v18, v17, vcc_lo
	v_add_co_u32 v17, vcc_lo, v3, 1
	v_add_co_ci_u32_e32 v18, vcc_lo, 0, v12, vcc_lo
	v_cmp_ne_u32_e32 vcc_lo, 0, v13
	s_delay_alu instid0(VALU_DEP_2) | instskip(NEXT) | instid1(VALU_DEP_4)
	v_cndmask_b32_e32 v11, v18, v16, vcc_lo
	v_cndmask_b32_e32 v13, v17, v15, vcc_lo
	v_cmp_ne_u32_e32 vcc_lo, 0, v10
	v_xor_b32_e32 v15, s6, v19
	s_delay_alu instid0(VALU_DEP_3) | instskip(NEXT) | instid1(VALU_DEP_1)
	v_dual_cndmask_b32 v3, v3, v13 :: v_dual_cndmask_b32 v10, v12, v11
                                        ; implicit-def: $vgpr12_vgpr13
	v_xor_b32_e32 v3, v3, v15
	s_delay_alu instid0(VALU_DEP_2) | instskip(NEXT) | instid1(VALU_DEP_2)
	v_xor_b32_e32 v11, v10, v15
	v_sub_co_u32 v10, vcc_lo, v3, v15
	s_delay_alu instid0(VALU_DEP_2)
	v_sub_co_ci_u32_e32 v11, vcc_lo, v11, v15, vcc_lo
.LBB21_9:                               ;   in Loop: Header=BB21_3 Depth=1
	s_and_not1_saveexec_b32 s0, s5
	s_cbranch_execz .LBB21_11
; %bb.10:                               ;   in Loop: Header=BB21_3 Depth=1
	v_cvt_f32_u32_e32 v3, s24
	s_sub_i32 s5, 0, s24
	s_delay_alu instid0(VALU_DEP_1) | instskip(SKIP_2) | instid1(VALU_DEP_1)
	v_rcp_iflag_f32_e32 v3, v3
	s_waitcnt_depctr 0xfff
	v_mul_f32_e32 v3, 0x4f7ffffe, v3
	v_cvt_u32_f32_e32 v3, v3
	s_delay_alu instid0(VALU_DEP_1) | instskip(NEXT) | instid1(VALU_DEP_1)
	v_mul_lo_u32 v10, s5, v3
	v_mul_hi_u32 v10, v3, v10
	s_delay_alu instid0(VALU_DEP_1) | instskip(NEXT) | instid1(VALU_DEP_1)
	v_add_nc_u32_e32 v3, v3, v10
	v_mul_hi_u32 v3, v12, v3
	s_delay_alu instid0(VALU_DEP_1) | instskip(SKIP_1) | instid1(VALU_DEP_2)
	v_mul_lo_u32 v10, v3, s24
	v_add_nc_u32_e32 v11, 1, v3
	v_sub_nc_u32_e32 v10, v12, v10
	s_delay_alu instid0(VALU_DEP_1) | instskip(SKIP_1) | instid1(VALU_DEP_2)
	v_subrev_nc_u32_e32 v12, s24, v10
	v_cmp_le_u32_e32 vcc_lo, s24, v10
	v_dual_cndmask_b32 v10, v10, v12 :: v_dual_cndmask_b32 v3, v3, v11
	s_delay_alu instid0(VALU_DEP_1) | instskip(NEXT) | instid1(VALU_DEP_2)
	v_cmp_le_u32_e32 vcc_lo, s24, v10
	v_add_nc_u32_e32 v11, 1, v3
	s_delay_alu instid0(VALU_DEP_1)
	v_dual_cndmask_b32 v10, v3, v11 :: v_dual_mov_b32 v11, v2
.LBB21_11:                              ;   in Loop: Header=BB21_3 Depth=1
	s_or_b32 exec_lo, exec_lo, s0
	s_delay_alu instid0(VALU_DEP_1) | instskip(SKIP_1) | instid1(VALU_DEP_1)
	v_or_b32_e32 v3, s23, v11
                                        ; implicit-def: $vgpr12_vgpr13
	s_mov_b32 s0, exec_lo
	v_cmpx_ne_u64_e32 0, v[2:3]
	s_xor_b32 s5, exec_lo, s0
	s_cbranch_execz .LBB21_13
; %bb.12:                               ;   in Loop: Header=BB21_3 Depth=1
	s_ashr_i32 s8, s23, 31
	s_delay_alu instid0(SALU_CYCLE_1) | instskip(SKIP_2) | instid1(SALU_CYCLE_1)
	s_add_u32 s10, s22, s8
	s_mov_b32 s9, s8
	s_addc_u32 s11, s23, s8
	s_xor_b64 s[10:11], s[10:11], s[8:9]
	s_delay_alu instid0(SALU_CYCLE_1) | instskip(SKIP_3) | instid1(VALU_DEP_1)
	v_cvt_f32_u32_e32 v3, s10
	v_cvt_f32_u32_e32 v12, s11
	s_sub_u32 s0, 0, s10
	s_subb_u32 s7, 0, s11
	v_fmac_f32_e32 v3, 0x4f800000, v12
	s_delay_alu instid0(VALU_DEP_1) | instskip(SKIP_2) | instid1(VALU_DEP_1)
	v_rcp_f32_e32 v3, v3
	s_waitcnt_depctr 0xfff
	v_mul_f32_e32 v3, 0x5f7ffffc, v3
	v_mul_f32_e32 v12, 0x2f800000, v3
	s_delay_alu instid0(VALU_DEP_1) | instskip(NEXT) | instid1(VALU_DEP_1)
	v_trunc_f32_e32 v12, v12
	v_fmac_f32_e32 v3, 0xcf800000, v12
	v_cvt_u32_f32_e32 v12, v12
	s_delay_alu instid0(VALU_DEP_2) | instskip(NEXT) | instid1(VALU_DEP_2)
	v_cvt_u32_f32_e32 v3, v3
	v_mul_lo_u32 v13, s0, v12
	s_delay_alu instid0(VALU_DEP_2) | instskip(SKIP_1) | instid1(VALU_DEP_2)
	v_mul_hi_u32 v15, s0, v3
	v_mul_lo_u32 v16, s7, v3
	v_add_nc_u32_e32 v13, v15, v13
	v_mul_lo_u32 v15, s0, v3
	s_delay_alu instid0(VALU_DEP_2) | instskip(NEXT) | instid1(VALU_DEP_2)
	v_add_nc_u32_e32 v13, v13, v16
	v_mul_hi_u32 v16, v3, v15
	s_delay_alu instid0(VALU_DEP_2)
	v_mul_lo_u32 v17, v3, v13
	v_mul_hi_u32 v18, v3, v13
	v_mul_hi_u32 v19, v12, v15
	v_mul_lo_u32 v15, v12, v15
	v_mul_hi_u32 v20, v12, v13
	v_mul_lo_u32 v13, v12, v13
	v_add_co_u32 v16, vcc_lo, v16, v17
	v_add_co_ci_u32_e32 v17, vcc_lo, 0, v18, vcc_lo
	s_delay_alu instid0(VALU_DEP_2) | instskip(NEXT) | instid1(VALU_DEP_2)
	v_add_co_u32 v15, vcc_lo, v16, v15
	v_add_co_ci_u32_e32 v15, vcc_lo, v17, v19, vcc_lo
	v_add_co_ci_u32_e32 v16, vcc_lo, 0, v20, vcc_lo
	v_ashrrev_i32_e32 v19, 31, v11
	s_delay_alu instid0(VALU_DEP_3) | instskip(NEXT) | instid1(VALU_DEP_3)
	v_add_co_u32 v13, vcc_lo, v15, v13
	v_add_co_ci_u32_e32 v15, vcc_lo, 0, v16, vcc_lo
	s_delay_alu instid0(VALU_DEP_2) | instskip(NEXT) | instid1(VALU_DEP_2)
	v_add_co_u32 v3, vcc_lo, v3, v13
	v_add_co_ci_u32_e32 v12, vcc_lo, v12, v15, vcc_lo
	s_delay_alu instid0(VALU_DEP_2) | instskip(SKIP_1) | instid1(VALU_DEP_3)
	v_mul_hi_u32 v13, s0, v3
	v_mul_lo_u32 v16, s7, v3
	v_mul_lo_u32 v15, s0, v12
	s_delay_alu instid0(VALU_DEP_1) | instskip(SKIP_1) | instid1(VALU_DEP_2)
	v_add_nc_u32_e32 v13, v13, v15
	v_mul_lo_u32 v15, s0, v3
	v_add_nc_u32_e32 v13, v13, v16
	s_delay_alu instid0(VALU_DEP_2) | instskip(NEXT) | instid1(VALU_DEP_2)
	v_mul_hi_u32 v16, v3, v15
	v_mul_lo_u32 v17, v3, v13
	v_mul_hi_u32 v18, v3, v13
	v_mul_hi_u32 v20, v12, v15
	v_mul_lo_u32 v15, v12, v15
	v_mul_hi_u32 v21, v12, v13
	v_mul_lo_u32 v13, v12, v13
	v_add_co_u32 v16, vcc_lo, v16, v17
	v_add_co_ci_u32_e32 v17, vcc_lo, 0, v18, vcc_lo
	s_delay_alu instid0(VALU_DEP_2) | instskip(NEXT) | instid1(VALU_DEP_2)
	v_add_co_u32 v15, vcc_lo, v16, v15
	v_add_co_ci_u32_e32 v15, vcc_lo, v17, v20, vcc_lo
	v_add_co_ci_u32_e32 v16, vcc_lo, 0, v21, vcc_lo
	v_add_co_u32 v17, vcc_lo, v10, v19
	v_add_co_ci_u32_e32 v11, vcc_lo, v11, v19, vcc_lo
	s_delay_alu instid0(VALU_DEP_4) | instskip(NEXT) | instid1(VALU_DEP_4)
	v_add_co_u32 v13, vcc_lo, v15, v13
	v_add_co_ci_u32_e32 v15, vcc_lo, 0, v16, vcc_lo
	s_delay_alu instid0(VALU_DEP_4) | instskip(NEXT) | instid1(VALU_DEP_3)
	v_xor_b32_e32 v20, v17, v19
	v_add_co_u32 v3, vcc_lo, v3, v13
	s_delay_alu instid0(VALU_DEP_3) | instskip(SKIP_1) | instid1(VALU_DEP_3)
	v_add_co_ci_u32_e32 v13, vcc_lo, v12, v15, vcc_lo
	v_xor_b32_e32 v21, v11, v19
	v_mul_hi_u32 v22, v20, v3
	s_delay_alu instid0(VALU_DEP_3) | instskip(NEXT) | instid1(VALU_DEP_3)
	v_mad_u64_u32 v[11:12], null, v20, v13, 0
	v_mad_u64_u32 v[15:16], null, v21, v3, 0
	;; [unrolled: 1-line block ×3, first 2 shown]
	s_delay_alu instid0(VALU_DEP_3) | instskip(NEXT) | instid1(VALU_DEP_4)
	v_add_co_u32 v3, vcc_lo, v22, v11
	v_add_co_ci_u32_e32 v11, vcc_lo, 0, v12, vcc_lo
	s_delay_alu instid0(VALU_DEP_2) | instskip(NEXT) | instid1(VALU_DEP_2)
	v_add_co_u32 v3, vcc_lo, v3, v15
	v_add_co_ci_u32_e32 v3, vcc_lo, v11, v16, vcc_lo
	v_add_co_ci_u32_e32 v11, vcc_lo, 0, v18, vcc_lo
	s_delay_alu instid0(VALU_DEP_2) | instskip(NEXT) | instid1(VALU_DEP_2)
	v_add_co_u32 v3, vcc_lo, v3, v17
	v_add_co_ci_u32_e32 v13, vcc_lo, 0, v11, vcc_lo
	s_delay_alu instid0(VALU_DEP_2) | instskip(SKIP_1) | instid1(VALU_DEP_3)
	v_mul_lo_u32 v15, s11, v3
	v_mad_u64_u32 v[11:12], null, s10, v3, 0
	v_mul_lo_u32 v13, s10, v13
	s_delay_alu instid0(VALU_DEP_2) | instskip(NEXT) | instid1(VALU_DEP_2)
	v_sub_co_u32 v11, vcc_lo, v20, v11
	v_add3_u32 v12, v12, v13, v15
	v_add_co_u32 v15, s0, v3, 2
	s_delay_alu instid0(VALU_DEP_2) | instskip(NEXT) | instid1(VALU_DEP_1)
	v_sub_nc_u32_e32 v13, v21, v12
	v_subrev_co_ci_u32_e64 v13, s0, s11, v13, vcc_lo
	v_sub_co_u32 v16, s0, v11, s10
	v_sub_co_ci_u32_e32 v12, vcc_lo, v21, v12, vcc_lo
	s_delay_alu instid0(VALU_DEP_3) | instskip(NEXT) | instid1(VALU_DEP_3)
	v_subrev_co_ci_u32_e64 v13, s0, 0, v13, s0
	v_cmp_le_u32_e32 vcc_lo, s10, v16
	v_cndmask_b32_e64 v16, 0, -1, vcc_lo
	s_delay_alu instid0(VALU_DEP_3)
	v_cmp_le_u32_e32 vcc_lo, s11, v13
	v_cndmask_b32_e64 v17, 0, -1, vcc_lo
	v_cmp_le_u32_e32 vcc_lo, s10, v11
	v_cndmask_b32_e64 v11, 0, -1, vcc_lo
	;; [unrolled: 2-line block ×3, first 2 shown]
	v_cmp_eq_u32_e32 vcc_lo, s11, v13
	v_cndmask_b32_e32 v13, v17, v16, vcc_lo
	v_add_co_u32 v16, vcc_lo, v3, 1
	v_cmp_eq_u32_e32 vcc_lo, s11, v12
	v_cndmask_b32_e32 v11, v18, v11, vcc_lo
	s_delay_alu instid0(VALU_DEP_4) | instskip(NEXT) | instid1(VALU_DEP_4)
	v_cmp_ne_u32_e32 vcc_lo, 0, v13
	v_cndmask_b32_e32 v12, v16, v15, vcc_lo
	s_delay_alu instid0(VALU_DEP_3) | instskip(SKIP_1) | instid1(VALU_DEP_3)
	v_cmp_ne_u32_e32 vcc_lo, 0, v11
	v_xor_b32_e32 v11, s8, v19
	v_cndmask_b32_e32 v3, v3, v12, vcc_lo
	s_delay_alu instid0(VALU_DEP_1) | instskip(NEXT) | instid1(VALU_DEP_1)
	v_xor_b32_e32 v3, v3, v11
	v_sub_co_u32 v12, vcc_lo, v3, v11
.LBB21_13:                              ;   in Loop: Header=BB21_3 Depth=1
	s_and_not1_saveexec_b32 s0, s5
	s_cbranch_execz .LBB21_2
; %bb.14:                               ;   in Loop: Header=BB21_3 Depth=1
	v_cvt_f32_u32_e32 v3, s22
	s_sub_i32 s5, 0, s22
	s_delay_alu instid0(VALU_DEP_1) | instskip(SKIP_2) | instid1(VALU_DEP_1)
	v_rcp_iflag_f32_e32 v3, v3
	s_waitcnt_depctr 0xfff
	v_mul_f32_e32 v3, 0x4f7ffffe, v3
	v_cvt_u32_f32_e32 v3, v3
	s_delay_alu instid0(VALU_DEP_1) | instskip(NEXT) | instid1(VALU_DEP_1)
	v_mul_lo_u32 v11, s5, v3
	v_mul_hi_u32 v11, v3, v11
	s_delay_alu instid0(VALU_DEP_1) | instskip(NEXT) | instid1(VALU_DEP_1)
	v_add_nc_u32_e32 v3, v3, v11
	v_mul_hi_u32 v3, v10, v3
	s_delay_alu instid0(VALU_DEP_1) | instskip(NEXT) | instid1(VALU_DEP_1)
	v_mul_lo_u32 v11, v3, s22
	v_sub_nc_u32_e32 v11, v10, v11
	s_delay_alu instid0(VALU_DEP_1) | instskip(SKIP_1) | instid1(VALU_DEP_2)
	v_subrev_nc_u32_e32 v13, s22, v11
	v_cmp_le_u32_e32 vcc_lo, s22, v11
	v_dual_cndmask_b32 v11, v11, v13 :: v_dual_add_nc_u32 v12, 1, v3
	s_delay_alu instid0(VALU_DEP_1) | instskip(NEXT) | instid1(VALU_DEP_2)
	v_cndmask_b32_e32 v3, v3, v12, vcc_lo
	v_cmp_le_u32_e32 vcc_lo, s22, v11
	s_delay_alu instid0(VALU_DEP_2) | instskip(NEXT) | instid1(VALU_DEP_1)
	v_add_nc_u32_e32 v12, 1, v3
	v_cndmask_b32_e32 v12, v3, v12, vcc_lo
	s_branch .LBB21_2
.LBB21_15:
	s_nop 0
	s_sendmsg sendmsg(MSG_DEALLOC_VGPRS)
	s_endpgm
	.section	.rodata,"a",@progbits
	.p2align	6, 0x0
	.amdhsa_kernel _ZN2at6native31max_unpooling2d_backward_kernelIlEEvlPKT_PKllllllPS2_
		.amdhsa_group_segment_fixed_size 0
		.amdhsa_private_segment_fixed_size 0
		.amdhsa_kernarg_size 328
		.amdhsa_user_sgpr_count 15
		.amdhsa_user_sgpr_dispatch_ptr 0
		.amdhsa_user_sgpr_queue_ptr 0
		.amdhsa_user_sgpr_kernarg_segment_ptr 1
		.amdhsa_user_sgpr_dispatch_id 0
		.amdhsa_user_sgpr_private_segment_size 0
		.amdhsa_wavefront_size32 1
		.amdhsa_uses_dynamic_stack 0
		.amdhsa_enable_private_segment 0
		.amdhsa_system_sgpr_workgroup_id_x 1
		.amdhsa_system_sgpr_workgroup_id_y 0
		.amdhsa_system_sgpr_workgroup_id_z 0
		.amdhsa_system_sgpr_workgroup_info 0
		.amdhsa_system_vgpr_workitem_id 0
		.amdhsa_next_free_vgpr 23
		.amdhsa_next_free_sgpr 32
		.amdhsa_reserve_vcc 1
		.amdhsa_float_round_mode_32 0
		.amdhsa_float_round_mode_16_64 0
		.amdhsa_float_denorm_mode_32 3
		.amdhsa_float_denorm_mode_16_64 3
		.amdhsa_dx10_clamp 1
		.amdhsa_ieee_mode 1
		.amdhsa_fp16_overflow 0
		.amdhsa_workgroup_processor_mode 1
		.amdhsa_memory_ordered 1
		.amdhsa_forward_progress 0
		.amdhsa_shared_vgpr_count 0
		.amdhsa_exception_fp_ieee_invalid_op 0
		.amdhsa_exception_fp_denorm_src 0
		.amdhsa_exception_fp_ieee_div_zero 0
		.amdhsa_exception_fp_ieee_overflow 0
		.amdhsa_exception_fp_ieee_underflow 0
		.amdhsa_exception_fp_ieee_inexact 0
		.amdhsa_exception_int_div_zero 0
	.end_amdhsa_kernel
	.section	.text._ZN2at6native31max_unpooling2d_backward_kernelIlEEvlPKT_PKllllllPS2_,"axG",@progbits,_ZN2at6native31max_unpooling2d_backward_kernelIlEEvlPKT_PKllllllPS2_,comdat
.Lfunc_end21:
	.size	_ZN2at6native31max_unpooling2d_backward_kernelIlEEvlPKT_PKllllllPS2_, .Lfunc_end21-_ZN2at6native31max_unpooling2d_backward_kernelIlEEvlPKT_PKllllllPS2_
                                        ; -- End function
	.section	.AMDGPU.csdata,"",@progbits
; Kernel info:
; codeLenInByte = 3380
; NumSgprs: 34
; NumVgprs: 23
; ScratchSize: 0
; MemoryBound: 0
; FloatMode: 240
; IeeeMode: 1
; LDSByteSize: 0 bytes/workgroup (compile time only)
; SGPRBlocks: 4
; VGPRBlocks: 2
; NumSGPRsForWavesPerEU: 34
; NumVGPRsForWavesPerEU: 23
; Occupancy: 16
; WaveLimiterHint : 1
; COMPUTE_PGM_RSRC2:SCRATCH_EN: 0
; COMPUTE_PGM_RSRC2:USER_SGPR: 15
; COMPUTE_PGM_RSRC2:TRAP_HANDLER: 0
; COMPUTE_PGM_RSRC2:TGID_X_EN: 1
; COMPUTE_PGM_RSRC2:TGID_Y_EN: 0
; COMPUTE_PGM_RSRC2:TGID_Z_EN: 0
; COMPUTE_PGM_RSRC2:TIDIG_COMP_CNT: 0
	.section	.text._ZN2at6native31max_unpooling2d_backward_kernelIsEEvlPKT_PKllllllPS2_,"axG",@progbits,_ZN2at6native31max_unpooling2d_backward_kernelIsEEvlPKT_PKllllllPS2_,comdat
	.protected	_ZN2at6native31max_unpooling2d_backward_kernelIsEEvlPKT_PKllllllPS2_ ; -- Begin function _ZN2at6native31max_unpooling2d_backward_kernelIsEEvlPKT_PKllllllPS2_
	.globl	_ZN2at6native31max_unpooling2d_backward_kernelIsEEvlPKT_PKllllllPS2_
	.p2align	8
	.type	_ZN2at6native31max_unpooling2d_backward_kernelIsEEvlPKT_PKllllllPS2_,@function
_ZN2at6native31max_unpooling2d_backward_kernelIsEEvlPKT_PKllllllPS2_: ; @_ZN2at6native31max_unpooling2d_backward_kernelIsEEvlPKT_PKllllllPS2_
; %bb.0:
	s_clause 0x1
	s_load_b32 s4, s[0:1], 0x54
	s_load_b512 s[16:31], s[0:1], 0x0
	v_mov_b32_e32 v2, 0
	s_add_u32 s2, s0, 0x48
	s_addc_u32 s3, s1, 0
	s_mov_b32 s5, exec_lo
	s_delay_alu instid0(VALU_DEP_1)
	v_mov_b32_e32 v1, v2
	s_waitcnt lgkmcnt(0)
	s_and_b32 s4, s4, 0xffff
	s_delay_alu instid0(VALU_DEP_1) | instid1(SALU_CYCLE_1)
	v_mad_u64_u32 v[4:5], null, s4, s15, v[0:1]
	s_delay_alu instid0(VALU_DEP_1)
	v_cmpx_gt_i64_e64 s[16:17], v[4:5]
	s_cbranch_execz .LBB22_15
; %bb.1:
	v_cvt_f32_u32_e32 v0, s26
	s_load_b32 s5, s[2:3], 0x0
	s_sub_i32 s2, 0, s26
	s_mul_hi_u32 s6, s30, s28
	s_mul_i32 s7, s31, s28
	v_rcp_iflag_f32_e32 v0, v0
	s_mov_b32 s12, 0
	s_waitcnt_depctr 0xfff
	v_dual_mov_b32 v3, v4 :: v_dual_mul_f32 v0, 0x4f7ffffe, v0
	s_delay_alu instid0(VALU_DEP_1)
	v_cvt_u32_f32_e32 v6, v0
	s_waitcnt lgkmcnt(0)
	s_mul_i32 s14, s5, s4
	s_ashr_i32 s4, s27, 31
	s_mov_b32 s15, s14
	v_mul_lo_u32 v0, s2, v6
	s_load_b64 s[2:3], s[0:1], 0x40
	s_mul_i32 s0, s30, s29
	s_mul_i32 s1, s30, s28
	s_add_i32 s0, s6, s0
	s_ashr_i32 s6, s25, 31
	s_add_i32 s13, s0, s7
	s_delay_alu instid0(VALU_DEP_1) | instskip(SKIP_1) | instid1(VALU_DEP_2)
	v_mul_hi_u32 v7, v6, v0
	v_dual_mov_b32 v0, s18 :: v_dual_mov_b32 v1, s19
	v_dual_mov_b32 v7, v3 :: v_dual_add_nc_u32 v14, v6, v7
	v_mov_b32_e32 v6, v2
	s_branch .LBB22_3
.LBB22_2:                               ;   in Loop: Header=BB22_3 Depth=1
	s_or_b32 exec_lo, exec_lo, s0
	v_lshlrev_b64 v[15:16], 3, v[8:9]
	s_delay_alu instid0(VALU_DEP_2)
	v_mul_lo_u32 v11, v12, s22
	v_ashrrev_i32_e32 v13, 31, v12
	v_mul_lo_u32 v17, v12, s23
	v_lshlrev_b64 v[8:9], 1, v[8:9]
	v_add_co_u32 v6, s0, v6, 0
	v_add_co_u32 v15, vcc_lo, s20, v15
	v_add_co_ci_u32_e32 v16, vcc_lo, s21, v16, vcc_lo
	v_sub_nc_u32_e32 v10, v10, v11
	v_mul_lo_u32 v13, v13, s22
	v_add_co_ci_u32_e64 v7, s0, s15, v7, s0
	global_load_b32 v3, v[15:16], off
	v_ashrrev_i32_e32 v11, 31, v10
	s_delay_alu instid0(VALU_DEP_1) | instskip(NEXT) | instid1(VALU_DEP_1)
	v_mad_u64_u32 v[15:16], null, v12, s22, v[10:11]
	v_add3_u32 v12, v13, v16, v17
	s_delay_alu instid0(VALU_DEP_2) | instskip(SKIP_1) | instid1(VALU_DEP_3)
	v_mul_lo_u32 v13, s13, v15
	v_mad_u64_u32 v[10:11], null, s1, v15, 0
	v_mul_lo_u32 v12, s1, v12
	s_delay_alu instid0(VALU_DEP_1) | instskip(NEXT) | instid1(VALU_DEP_1)
	v_add3_u32 v11, v11, v12, v13
	v_lshlrev_b64 v[10:11], 1, v[10:11]
	s_delay_alu instid0(VALU_DEP_1) | instskip(NEXT) | instid1(VALU_DEP_2)
	v_add_co_u32 v0, vcc_lo, v0, v10
	v_add_co_ci_u32_e32 v1, vcc_lo, v1, v11, vcc_lo
	s_waitcnt vmcnt(0)
	v_ashrrev_i64 v[12:13], 31, v[2:3]
	s_delay_alu instid0(VALU_DEP_1) | instskip(NEXT) | instid1(VALU_DEP_2)
	v_add_co_u32 v10, vcc_lo, v0, v12
	v_add_co_ci_u32_e32 v11, vcc_lo, v1, v13, vcc_lo
	v_add_co_u32 v4, vcc_lo, v4, s14
	v_add_co_ci_u32_e32 v5, vcc_lo, 0, v5, vcc_lo
	global_load_u16 v3, v[10:11], off
	s_waitcnt lgkmcnt(0)
	v_add_co_u32 v8, vcc_lo, s2, v8
	v_add_co_ci_u32_e32 v9, vcc_lo, s3, v9, vcc_lo
	v_cmp_le_i64_e32 vcc_lo, s[16:17], v[4:5]
	s_or_b32 s12, vcc_lo, s12
	s_waitcnt vmcnt(0)
	global_store_b16 v[8:9], v3, off
	s_and_not1_b32 exec_lo, exec_lo, s12
	s_cbranch_execz .LBB22_15
.LBB22_3:                               ; =>This Inner Loop Header: Depth=1
	s_delay_alu instid0(VALU_DEP_2) | instskip(SKIP_2) | instid1(VALU_DEP_2)
	v_ashrrev_i32_e32 v9, 31, v7
	v_mov_b32_e32 v8, v7
                                        ; implicit-def: $vgpr12_vgpr13
	s_mov_b32 s0, exec_lo
	v_or_b32_e32 v3, s27, v9
	s_delay_alu instid0(VALU_DEP_1)
	v_cmpx_ne_u64_e32 0, v[2:3]
	s_xor_b32 s7, exec_lo, s0
	s_cbranch_execz .LBB22_5
; %bb.4:                                ;   in Loop: Header=BB22_3 Depth=1
	s_add_u32 s8, s26, s4
	s_mov_b32 s5, s4
	s_addc_u32 s9, s27, s4
	s_delay_alu instid0(SALU_CYCLE_1) | instskip(NEXT) | instid1(SALU_CYCLE_1)
	s_xor_b64 s[8:9], s[8:9], s[4:5]
	v_cvt_f32_u32_e32 v3, s8
	v_cvt_f32_u32_e32 v10, s9
	s_sub_u32 s0, 0, s8
	s_subb_u32 s5, 0, s9
	s_delay_alu instid0(VALU_DEP_1) | instskip(NEXT) | instid1(VALU_DEP_1)
	v_fmac_f32_e32 v3, 0x4f800000, v10
	v_rcp_f32_e32 v3, v3
	s_waitcnt_depctr 0xfff
	v_mul_f32_e32 v3, 0x5f7ffffc, v3
	s_delay_alu instid0(VALU_DEP_1) | instskip(NEXT) | instid1(VALU_DEP_1)
	v_mul_f32_e32 v10, 0x2f800000, v3
	v_trunc_f32_e32 v10, v10
	s_delay_alu instid0(VALU_DEP_1) | instskip(SKIP_1) | instid1(VALU_DEP_2)
	v_fmac_f32_e32 v3, 0xcf800000, v10
	v_cvt_u32_f32_e32 v10, v10
	v_cvt_u32_f32_e32 v3, v3
	s_delay_alu instid0(VALU_DEP_2) | instskip(NEXT) | instid1(VALU_DEP_2)
	v_mul_lo_u32 v11, s0, v10
	v_mul_hi_u32 v12, s0, v3
	v_mul_lo_u32 v13, s5, v3
	s_delay_alu instid0(VALU_DEP_2) | instskip(SKIP_1) | instid1(VALU_DEP_2)
	v_add_nc_u32_e32 v11, v12, v11
	v_mul_lo_u32 v12, s0, v3
	v_add_nc_u32_e32 v11, v11, v13
	s_delay_alu instid0(VALU_DEP_2) | instskip(NEXT) | instid1(VALU_DEP_2)
	v_mul_hi_u32 v13, v3, v12
	v_mul_lo_u32 v15, v3, v11
	v_mul_hi_u32 v16, v3, v11
	v_mul_hi_u32 v17, v10, v12
	v_mul_lo_u32 v12, v10, v12
	v_mul_hi_u32 v18, v10, v11
	v_mul_lo_u32 v11, v10, v11
	v_add_co_u32 v13, vcc_lo, v13, v15
	v_add_co_ci_u32_e32 v15, vcc_lo, 0, v16, vcc_lo
	s_delay_alu instid0(VALU_DEP_2) | instskip(NEXT) | instid1(VALU_DEP_2)
	v_add_co_u32 v12, vcc_lo, v13, v12
	v_add_co_ci_u32_e32 v12, vcc_lo, v15, v17, vcc_lo
	v_add_co_ci_u32_e32 v13, vcc_lo, 0, v18, vcc_lo
	v_ashrrev_i32_e32 v17, 31, v9
	s_delay_alu instid0(VALU_DEP_3) | instskip(NEXT) | instid1(VALU_DEP_3)
	v_add_co_u32 v11, vcc_lo, v12, v11
	v_add_co_ci_u32_e32 v12, vcc_lo, 0, v13, vcc_lo
	s_delay_alu instid0(VALU_DEP_2) | instskip(NEXT) | instid1(VALU_DEP_2)
	v_add_co_u32 v3, vcc_lo, v3, v11
	v_add_co_ci_u32_e32 v10, vcc_lo, v10, v12, vcc_lo
	s_delay_alu instid0(VALU_DEP_2) | instskip(SKIP_1) | instid1(VALU_DEP_3)
	v_mul_hi_u32 v11, s0, v3
	v_mul_lo_u32 v13, s5, v3
	v_mul_lo_u32 v12, s0, v10
	s_delay_alu instid0(VALU_DEP_1) | instskip(SKIP_1) | instid1(VALU_DEP_2)
	v_add_nc_u32_e32 v11, v11, v12
	v_mul_lo_u32 v12, s0, v3
	v_add_nc_u32_e32 v11, v11, v13
	s_delay_alu instid0(VALU_DEP_2) | instskip(NEXT) | instid1(VALU_DEP_2)
	v_mul_hi_u32 v13, v3, v12
	v_mul_lo_u32 v15, v3, v11
	v_mul_hi_u32 v16, v3, v11
	v_mul_hi_u32 v18, v10, v12
	v_mul_lo_u32 v12, v10, v12
	v_mul_hi_u32 v19, v10, v11
	v_mul_lo_u32 v11, v10, v11
	v_add_co_u32 v13, vcc_lo, v13, v15
	v_add_co_ci_u32_e32 v15, vcc_lo, 0, v16, vcc_lo
	s_delay_alu instid0(VALU_DEP_2) | instskip(NEXT) | instid1(VALU_DEP_2)
	v_add_co_u32 v12, vcc_lo, v13, v12
	v_add_co_ci_u32_e32 v12, vcc_lo, v15, v18, vcc_lo
	v_add_co_ci_u32_e32 v13, vcc_lo, 0, v19, vcc_lo
	v_add_co_u32 v15, vcc_lo, v8, v17
	v_add_co_ci_u32_e32 v16, vcc_lo, v9, v17, vcc_lo
	s_delay_alu instid0(VALU_DEP_4) | instskip(NEXT) | instid1(VALU_DEP_4)
	v_add_co_u32 v11, vcc_lo, v12, v11
	v_add_co_ci_u32_e32 v12, vcc_lo, 0, v13, vcc_lo
	s_delay_alu instid0(VALU_DEP_4) | instskip(NEXT) | instid1(VALU_DEP_3)
	v_xor_b32_e32 v18, v15, v17
	v_add_co_u32 v3, vcc_lo, v3, v11
	s_delay_alu instid0(VALU_DEP_3) | instskip(SKIP_1) | instid1(VALU_DEP_3)
	v_add_co_ci_u32_e32 v19, vcc_lo, v10, v12, vcc_lo
	v_xor_b32_e32 v20, v16, v17
	v_mul_hi_u32 v21, v18, v3
	s_delay_alu instid0(VALU_DEP_3) | instskip(NEXT) | instid1(VALU_DEP_3)
	v_mad_u64_u32 v[10:11], null, v18, v19, 0
	v_mad_u64_u32 v[12:13], null, v20, v3, 0
	;; [unrolled: 1-line block ×3, first 2 shown]
	s_delay_alu instid0(VALU_DEP_3) | instskip(NEXT) | instid1(VALU_DEP_4)
	v_add_co_u32 v3, vcc_lo, v21, v10
	v_add_co_ci_u32_e32 v10, vcc_lo, 0, v11, vcc_lo
	s_delay_alu instid0(VALU_DEP_2) | instskip(NEXT) | instid1(VALU_DEP_2)
	v_add_co_u32 v3, vcc_lo, v3, v12
	v_add_co_ci_u32_e32 v3, vcc_lo, v10, v13, vcc_lo
	v_add_co_ci_u32_e32 v10, vcc_lo, 0, v16, vcc_lo
	s_delay_alu instid0(VALU_DEP_2) | instskip(NEXT) | instid1(VALU_DEP_2)
	v_add_co_u32 v3, vcc_lo, v3, v15
	v_add_co_ci_u32_e32 v12, vcc_lo, 0, v10, vcc_lo
	s_delay_alu instid0(VALU_DEP_2) | instskip(SKIP_1) | instid1(VALU_DEP_3)
	v_mul_lo_u32 v13, s9, v3
	v_mad_u64_u32 v[10:11], null, s8, v3, 0
	v_mul_lo_u32 v15, s8, v12
	s_delay_alu instid0(VALU_DEP_2) | instskip(NEXT) | instid1(VALU_DEP_2)
	v_sub_co_u32 v10, vcc_lo, v18, v10
	v_add3_u32 v11, v11, v15, v13
	s_delay_alu instid0(VALU_DEP_1) | instskip(NEXT) | instid1(VALU_DEP_1)
	v_sub_nc_u32_e32 v13, v20, v11
	v_subrev_co_ci_u32_e64 v13, s0, s9, v13, vcc_lo
	v_add_co_u32 v15, s0, v3, 2
	s_delay_alu instid0(VALU_DEP_1) | instskip(SKIP_3) | instid1(VALU_DEP_3)
	v_add_co_ci_u32_e64 v16, s0, 0, v12, s0
	v_sub_co_u32 v18, s0, v10, s8
	v_sub_co_ci_u32_e32 v11, vcc_lo, v20, v11, vcc_lo
	v_subrev_co_ci_u32_e64 v13, s0, 0, v13, s0
	v_cmp_le_u32_e32 vcc_lo, s8, v18
	s_delay_alu instid0(VALU_DEP_3) | instskip(SKIP_1) | instid1(VALU_DEP_4)
	v_cmp_eq_u32_e64 s0, s9, v11
	v_cndmask_b32_e64 v18, 0, -1, vcc_lo
	v_cmp_le_u32_e32 vcc_lo, s9, v13
	v_cndmask_b32_e64 v19, 0, -1, vcc_lo
	v_cmp_le_u32_e32 vcc_lo, s8, v10
	;; [unrolled: 2-line block ×3, first 2 shown]
	v_cndmask_b32_e64 v20, 0, -1, vcc_lo
	v_cmp_eq_u32_e32 vcc_lo, s9, v13
	s_delay_alu instid0(VALU_DEP_2) | instskip(SKIP_3) | instid1(VALU_DEP_3)
	v_cndmask_b32_e64 v10, v20, v10, s0
	v_cndmask_b32_e32 v13, v19, v18, vcc_lo
	v_add_co_u32 v18, vcc_lo, v3, 1
	v_add_co_ci_u32_e32 v19, vcc_lo, 0, v12, vcc_lo
	v_cmp_ne_u32_e32 vcc_lo, 0, v13
	s_delay_alu instid0(VALU_DEP_2) | instskip(NEXT) | instid1(VALU_DEP_4)
	v_cndmask_b32_e32 v11, v19, v16, vcc_lo
	v_cndmask_b32_e32 v13, v18, v15, vcc_lo
	v_cmp_ne_u32_e32 vcc_lo, 0, v10
	v_xor_b32_e32 v10, s4, v17
	s_delay_alu instid0(VALU_DEP_3) | instskip(SKIP_1) | instid1(VALU_DEP_2)
	v_cndmask_b32_e32 v3, v3, v13, vcc_lo
	v_cndmask_b32_e32 v11, v12, v11, vcc_lo
	v_xor_b32_e32 v3, v3, v10
	s_delay_alu instid0(VALU_DEP_2) | instskip(NEXT) | instid1(VALU_DEP_2)
	v_xor_b32_e32 v11, v11, v10
	v_sub_co_u32 v12, vcc_lo, v3, v10
	s_delay_alu instid0(VALU_DEP_2)
	v_sub_co_ci_u32_e32 v13, vcc_lo, v11, v10, vcc_lo
.LBB22_5:                               ;   in Loop: Header=BB22_3 Depth=1
	s_and_not1_saveexec_b32 s0, s7
; %bb.6:                                ;   in Loop: Header=BB22_3 Depth=1
	v_mul_hi_u32 v3, v7, v14
	v_mov_b32_e32 v13, v2
	s_delay_alu instid0(VALU_DEP_2) | instskip(NEXT) | instid1(VALU_DEP_1)
	v_mul_lo_u32 v10, v3, s26
	v_sub_nc_u32_e32 v10, v7, v10
	s_delay_alu instid0(VALU_DEP_1) | instskip(SKIP_1) | instid1(VALU_DEP_2)
	v_subrev_nc_u32_e32 v12, s26, v10
	v_cmp_le_u32_e32 vcc_lo, s26, v10
	v_dual_cndmask_b32 v10, v10, v12 :: v_dual_add_nc_u32 v11, 1, v3
	s_delay_alu instid0(VALU_DEP_1) | instskip(NEXT) | instid1(VALU_DEP_2)
	v_cndmask_b32_e32 v3, v3, v11, vcc_lo
	v_cmp_le_u32_e32 vcc_lo, s26, v10
	s_delay_alu instid0(VALU_DEP_2) | instskip(NEXT) | instid1(VALU_DEP_1)
	v_add_nc_u32_e32 v11, 1, v3
	v_cndmask_b32_e32 v12, v3, v11, vcc_lo
; %bb.7:                                ;   in Loop: Header=BB22_3 Depth=1
	s_or_b32 exec_lo, exec_lo, s0
	v_or_b32_e32 v3, s25, v13
                                        ; implicit-def: $vgpr10_vgpr11
	s_mov_b32 s0, exec_lo
	s_delay_alu instid0(VALU_DEP_1)
	v_cmpx_ne_u64_e32 0, v[2:3]
	s_xor_b32 s5, exec_lo, s0
	s_cbranch_execz .LBB22_9
; %bb.8:                                ;   in Loop: Header=BB22_3 Depth=1
	s_add_u32 s8, s24, s6
	s_mov_b32 s7, s6
	s_addc_u32 s9, s25, s6
	s_delay_alu instid0(SALU_CYCLE_1) | instskip(NEXT) | instid1(SALU_CYCLE_1)
	s_xor_b64 s[8:9], s[8:9], s[6:7]
	v_cvt_f32_u32_e32 v3, s8
	v_cvt_f32_u32_e32 v10, s9
	s_sub_u32 s0, 0, s8
	s_subb_u32 s7, 0, s9
	s_delay_alu instid0(VALU_DEP_1) | instskip(NEXT) | instid1(VALU_DEP_1)
	v_fmac_f32_e32 v3, 0x4f800000, v10
	v_rcp_f32_e32 v3, v3
	s_waitcnt_depctr 0xfff
	v_mul_f32_e32 v3, 0x5f7ffffc, v3
	s_delay_alu instid0(VALU_DEP_1) | instskip(NEXT) | instid1(VALU_DEP_1)
	v_mul_f32_e32 v10, 0x2f800000, v3
	v_trunc_f32_e32 v10, v10
	s_delay_alu instid0(VALU_DEP_1) | instskip(SKIP_1) | instid1(VALU_DEP_2)
	v_fmac_f32_e32 v3, 0xcf800000, v10
	v_cvt_u32_f32_e32 v10, v10
	v_cvt_u32_f32_e32 v3, v3
	s_delay_alu instid0(VALU_DEP_2) | instskip(NEXT) | instid1(VALU_DEP_2)
	v_mul_lo_u32 v11, s0, v10
	v_mul_hi_u32 v15, s0, v3
	v_mul_lo_u32 v16, s7, v3
	s_delay_alu instid0(VALU_DEP_2) | instskip(SKIP_1) | instid1(VALU_DEP_2)
	v_add_nc_u32_e32 v11, v15, v11
	v_mul_lo_u32 v15, s0, v3
	v_add_nc_u32_e32 v11, v11, v16
	s_delay_alu instid0(VALU_DEP_2) | instskip(NEXT) | instid1(VALU_DEP_2)
	v_mul_hi_u32 v16, v3, v15
	v_mul_lo_u32 v17, v3, v11
	v_mul_hi_u32 v18, v3, v11
	v_mul_hi_u32 v19, v10, v15
	v_mul_lo_u32 v15, v10, v15
	v_mul_hi_u32 v20, v10, v11
	v_mul_lo_u32 v11, v10, v11
	v_add_co_u32 v16, vcc_lo, v16, v17
	v_add_co_ci_u32_e32 v17, vcc_lo, 0, v18, vcc_lo
	s_delay_alu instid0(VALU_DEP_2) | instskip(NEXT) | instid1(VALU_DEP_2)
	v_add_co_u32 v15, vcc_lo, v16, v15
	v_add_co_ci_u32_e32 v15, vcc_lo, v17, v19, vcc_lo
	v_add_co_ci_u32_e32 v16, vcc_lo, 0, v20, vcc_lo
	v_ashrrev_i32_e32 v19, 31, v13
	s_delay_alu instid0(VALU_DEP_3) | instskip(NEXT) | instid1(VALU_DEP_3)
	v_add_co_u32 v11, vcc_lo, v15, v11
	v_add_co_ci_u32_e32 v15, vcc_lo, 0, v16, vcc_lo
	s_delay_alu instid0(VALU_DEP_2) | instskip(NEXT) | instid1(VALU_DEP_2)
	v_add_co_u32 v3, vcc_lo, v3, v11
	v_add_co_ci_u32_e32 v10, vcc_lo, v10, v15, vcc_lo
	s_delay_alu instid0(VALU_DEP_2) | instskip(SKIP_1) | instid1(VALU_DEP_3)
	v_mul_hi_u32 v11, s0, v3
	v_mul_lo_u32 v16, s7, v3
	v_mul_lo_u32 v15, s0, v10
	s_delay_alu instid0(VALU_DEP_1) | instskip(SKIP_1) | instid1(VALU_DEP_2)
	v_add_nc_u32_e32 v11, v11, v15
	v_mul_lo_u32 v15, s0, v3
	v_add_nc_u32_e32 v11, v11, v16
	s_delay_alu instid0(VALU_DEP_2) | instskip(NEXT) | instid1(VALU_DEP_2)
	v_mul_hi_u32 v16, v3, v15
	v_mul_lo_u32 v17, v3, v11
	v_mul_hi_u32 v18, v3, v11
	v_mul_hi_u32 v20, v10, v15
	v_mul_lo_u32 v15, v10, v15
	v_mul_hi_u32 v21, v10, v11
	v_mul_lo_u32 v11, v10, v11
	v_add_co_u32 v16, vcc_lo, v16, v17
	v_add_co_ci_u32_e32 v17, vcc_lo, 0, v18, vcc_lo
	s_delay_alu instid0(VALU_DEP_2) | instskip(NEXT) | instid1(VALU_DEP_2)
	v_add_co_u32 v15, vcc_lo, v16, v15
	v_add_co_ci_u32_e32 v15, vcc_lo, v17, v20, vcc_lo
	v_add_co_ci_u32_e32 v16, vcc_lo, 0, v21, vcc_lo
	v_add_co_u32 v12, vcc_lo, v12, v19
	v_add_co_ci_u32_e32 v13, vcc_lo, v13, v19, vcc_lo
	s_delay_alu instid0(VALU_DEP_4) | instskip(NEXT) | instid1(VALU_DEP_4)
	v_add_co_u32 v11, vcc_lo, v15, v11
	v_add_co_ci_u32_e32 v15, vcc_lo, 0, v16, vcc_lo
	s_delay_alu instid0(VALU_DEP_4) | instskip(NEXT) | instid1(VALU_DEP_3)
	v_xor_b32_e32 v17, v12, v19
	v_add_co_u32 v3, vcc_lo, v3, v11
	s_delay_alu instid0(VALU_DEP_3) | instskip(SKIP_1) | instid1(VALU_DEP_3)
	v_add_co_ci_u32_e32 v18, vcc_lo, v10, v15, vcc_lo
	v_xor_b32_e32 v20, v13, v19
	v_mul_hi_u32 v21, v17, v3
	s_delay_alu instid0(VALU_DEP_3) | instskip(NEXT) | instid1(VALU_DEP_3)
	v_mad_u64_u32 v[10:11], null, v17, v18, 0
	v_mad_u64_u32 v[12:13], null, v20, v3, 0
	;; [unrolled: 1-line block ×3, first 2 shown]
	s_delay_alu instid0(VALU_DEP_3) | instskip(NEXT) | instid1(VALU_DEP_4)
	v_add_co_u32 v3, vcc_lo, v21, v10
	v_add_co_ci_u32_e32 v10, vcc_lo, 0, v11, vcc_lo
	s_delay_alu instid0(VALU_DEP_2) | instskip(NEXT) | instid1(VALU_DEP_2)
	v_add_co_u32 v3, vcc_lo, v3, v12
	v_add_co_ci_u32_e32 v3, vcc_lo, v10, v13, vcc_lo
	v_add_co_ci_u32_e32 v10, vcc_lo, 0, v16, vcc_lo
	s_delay_alu instid0(VALU_DEP_2) | instskip(NEXT) | instid1(VALU_DEP_2)
	v_add_co_u32 v3, vcc_lo, v3, v15
	v_add_co_ci_u32_e32 v12, vcc_lo, 0, v10, vcc_lo
	s_delay_alu instid0(VALU_DEP_2) | instskip(SKIP_1) | instid1(VALU_DEP_3)
	v_mul_lo_u32 v13, s9, v3
	v_mad_u64_u32 v[10:11], null, s8, v3, 0
	v_mul_lo_u32 v15, s8, v12
	s_delay_alu instid0(VALU_DEP_2) | instskip(NEXT) | instid1(VALU_DEP_2)
	v_sub_co_u32 v10, vcc_lo, v17, v10
	v_add3_u32 v11, v11, v15, v13
	s_delay_alu instid0(VALU_DEP_1) | instskip(NEXT) | instid1(VALU_DEP_1)
	v_sub_nc_u32_e32 v13, v20, v11
	v_subrev_co_ci_u32_e64 v13, s0, s9, v13, vcc_lo
	v_add_co_u32 v15, s0, v3, 2
	s_delay_alu instid0(VALU_DEP_1) | instskip(SKIP_3) | instid1(VALU_DEP_3)
	v_add_co_ci_u32_e64 v16, s0, 0, v12, s0
	v_sub_co_u32 v17, s0, v10, s8
	v_sub_co_ci_u32_e32 v11, vcc_lo, v20, v11, vcc_lo
	v_subrev_co_ci_u32_e64 v13, s0, 0, v13, s0
	v_cmp_le_u32_e32 vcc_lo, s8, v17
	s_delay_alu instid0(VALU_DEP_3) | instskip(SKIP_1) | instid1(VALU_DEP_4)
	v_cmp_eq_u32_e64 s0, s9, v11
	v_cndmask_b32_e64 v17, 0, -1, vcc_lo
	v_cmp_le_u32_e32 vcc_lo, s9, v13
	v_cndmask_b32_e64 v18, 0, -1, vcc_lo
	v_cmp_le_u32_e32 vcc_lo, s8, v10
	;; [unrolled: 2-line block ×3, first 2 shown]
	v_cndmask_b32_e64 v20, 0, -1, vcc_lo
	v_cmp_eq_u32_e32 vcc_lo, s9, v13
	s_delay_alu instid0(VALU_DEP_2) | instskip(SKIP_3) | instid1(VALU_DEP_3)
	v_cndmask_b32_e64 v10, v20, v10, s0
	v_cndmask_b32_e32 v13, v18, v17, vcc_lo
	v_add_co_u32 v17, vcc_lo, v3, 1
	v_add_co_ci_u32_e32 v18, vcc_lo, 0, v12, vcc_lo
	v_cmp_ne_u32_e32 vcc_lo, 0, v13
	s_delay_alu instid0(VALU_DEP_2) | instskip(NEXT) | instid1(VALU_DEP_4)
	v_cndmask_b32_e32 v11, v18, v16, vcc_lo
	v_cndmask_b32_e32 v13, v17, v15, vcc_lo
	v_cmp_ne_u32_e32 vcc_lo, 0, v10
	v_xor_b32_e32 v15, s6, v19
	s_delay_alu instid0(VALU_DEP_3) | instskip(NEXT) | instid1(VALU_DEP_1)
	v_dual_cndmask_b32 v3, v3, v13 :: v_dual_cndmask_b32 v10, v12, v11
                                        ; implicit-def: $vgpr12_vgpr13
	v_xor_b32_e32 v3, v3, v15
	s_delay_alu instid0(VALU_DEP_2) | instskip(NEXT) | instid1(VALU_DEP_2)
	v_xor_b32_e32 v11, v10, v15
	v_sub_co_u32 v10, vcc_lo, v3, v15
	s_delay_alu instid0(VALU_DEP_2)
	v_sub_co_ci_u32_e32 v11, vcc_lo, v11, v15, vcc_lo
.LBB22_9:                               ;   in Loop: Header=BB22_3 Depth=1
	s_and_not1_saveexec_b32 s0, s5
	s_cbranch_execz .LBB22_11
; %bb.10:                               ;   in Loop: Header=BB22_3 Depth=1
	v_cvt_f32_u32_e32 v3, s24
	s_sub_i32 s5, 0, s24
	s_delay_alu instid0(VALU_DEP_1) | instskip(SKIP_2) | instid1(VALU_DEP_1)
	v_rcp_iflag_f32_e32 v3, v3
	s_waitcnt_depctr 0xfff
	v_mul_f32_e32 v3, 0x4f7ffffe, v3
	v_cvt_u32_f32_e32 v3, v3
	s_delay_alu instid0(VALU_DEP_1) | instskip(NEXT) | instid1(VALU_DEP_1)
	v_mul_lo_u32 v10, s5, v3
	v_mul_hi_u32 v10, v3, v10
	s_delay_alu instid0(VALU_DEP_1) | instskip(NEXT) | instid1(VALU_DEP_1)
	v_add_nc_u32_e32 v3, v3, v10
	v_mul_hi_u32 v3, v12, v3
	s_delay_alu instid0(VALU_DEP_1) | instskip(SKIP_1) | instid1(VALU_DEP_2)
	v_mul_lo_u32 v10, v3, s24
	v_add_nc_u32_e32 v11, 1, v3
	v_sub_nc_u32_e32 v10, v12, v10
	s_delay_alu instid0(VALU_DEP_1) | instskip(SKIP_1) | instid1(VALU_DEP_2)
	v_subrev_nc_u32_e32 v12, s24, v10
	v_cmp_le_u32_e32 vcc_lo, s24, v10
	v_dual_cndmask_b32 v10, v10, v12 :: v_dual_cndmask_b32 v3, v3, v11
	s_delay_alu instid0(VALU_DEP_1) | instskip(NEXT) | instid1(VALU_DEP_2)
	v_cmp_le_u32_e32 vcc_lo, s24, v10
	v_add_nc_u32_e32 v11, 1, v3
	s_delay_alu instid0(VALU_DEP_1)
	v_dual_cndmask_b32 v10, v3, v11 :: v_dual_mov_b32 v11, v2
.LBB22_11:                              ;   in Loop: Header=BB22_3 Depth=1
	s_or_b32 exec_lo, exec_lo, s0
	s_delay_alu instid0(VALU_DEP_1) | instskip(SKIP_1) | instid1(VALU_DEP_1)
	v_or_b32_e32 v3, s23, v11
                                        ; implicit-def: $vgpr12_vgpr13
	s_mov_b32 s0, exec_lo
	v_cmpx_ne_u64_e32 0, v[2:3]
	s_xor_b32 s5, exec_lo, s0
	s_cbranch_execz .LBB22_13
; %bb.12:                               ;   in Loop: Header=BB22_3 Depth=1
	s_ashr_i32 s8, s23, 31
	s_delay_alu instid0(SALU_CYCLE_1) | instskip(SKIP_2) | instid1(SALU_CYCLE_1)
	s_add_u32 s10, s22, s8
	s_mov_b32 s9, s8
	s_addc_u32 s11, s23, s8
	s_xor_b64 s[10:11], s[10:11], s[8:9]
	s_delay_alu instid0(SALU_CYCLE_1) | instskip(SKIP_3) | instid1(VALU_DEP_1)
	v_cvt_f32_u32_e32 v3, s10
	v_cvt_f32_u32_e32 v12, s11
	s_sub_u32 s0, 0, s10
	s_subb_u32 s7, 0, s11
	v_fmac_f32_e32 v3, 0x4f800000, v12
	s_delay_alu instid0(VALU_DEP_1) | instskip(SKIP_2) | instid1(VALU_DEP_1)
	v_rcp_f32_e32 v3, v3
	s_waitcnt_depctr 0xfff
	v_mul_f32_e32 v3, 0x5f7ffffc, v3
	v_mul_f32_e32 v12, 0x2f800000, v3
	s_delay_alu instid0(VALU_DEP_1) | instskip(NEXT) | instid1(VALU_DEP_1)
	v_trunc_f32_e32 v12, v12
	v_fmac_f32_e32 v3, 0xcf800000, v12
	v_cvt_u32_f32_e32 v12, v12
	s_delay_alu instid0(VALU_DEP_2) | instskip(NEXT) | instid1(VALU_DEP_2)
	v_cvt_u32_f32_e32 v3, v3
	v_mul_lo_u32 v13, s0, v12
	s_delay_alu instid0(VALU_DEP_2) | instskip(SKIP_1) | instid1(VALU_DEP_2)
	v_mul_hi_u32 v15, s0, v3
	v_mul_lo_u32 v16, s7, v3
	v_add_nc_u32_e32 v13, v15, v13
	v_mul_lo_u32 v15, s0, v3
	s_delay_alu instid0(VALU_DEP_2) | instskip(NEXT) | instid1(VALU_DEP_2)
	v_add_nc_u32_e32 v13, v13, v16
	v_mul_hi_u32 v16, v3, v15
	s_delay_alu instid0(VALU_DEP_2)
	v_mul_lo_u32 v17, v3, v13
	v_mul_hi_u32 v18, v3, v13
	v_mul_hi_u32 v19, v12, v15
	v_mul_lo_u32 v15, v12, v15
	v_mul_hi_u32 v20, v12, v13
	v_mul_lo_u32 v13, v12, v13
	v_add_co_u32 v16, vcc_lo, v16, v17
	v_add_co_ci_u32_e32 v17, vcc_lo, 0, v18, vcc_lo
	s_delay_alu instid0(VALU_DEP_2) | instskip(NEXT) | instid1(VALU_DEP_2)
	v_add_co_u32 v15, vcc_lo, v16, v15
	v_add_co_ci_u32_e32 v15, vcc_lo, v17, v19, vcc_lo
	v_add_co_ci_u32_e32 v16, vcc_lo, 0, v20, vcc_lo
	v_ashrrev_i32_e32 v19, 31, v11
	s_delay_alu instid0(VALU_DEP_3) | instskip(NEXT) | instid1(VALU_DEP_3)
	v_add_co_u32 v13, vcc_lo, v15, v13
	v_add_co_ci_u32_e32 v15, vcc_lo, 0, v16, vcc_lo
	s_delay_alu instid0(VALU_DEP_2) | instskip(NEXT) | instid1(VALU_DEP_2)
	v_add_co_u32 v3, vcc_lo, v3, v13
	v_add_co_ci_u32_e32 v12, vcc_lo, v12, v15, vcc_lo
	s_delay_alu instid0(VALU_DEP_2) | instskip(SKIP_1) | instid1(VALU_DEP_3)
	v_mul_hi_u32 v13, s0, v3
	v_mul_lo_u32 v16, s7, v3
	v_mul_lo_u32 v15, s0, v12
	s_delay_alu instid0(VALU_DEP_1) | instskip(SKIP_1) | instid1(VALU_DEP_2)
	v_add_nc_u32_e32 v13, v13, v15
	v_mul_lo_u32 v15, s0, v3
	v_add_nc_u32_e32 v13, v13, v16
	s_delay_alu instid0(VALU_DEP_2) | instskip(NEXT) | instid1(VALU_DEP_2)
	v_mul_hi_u32 v16, v3, v15
	v_mul_lo_u32 v17, v3, v13
	v_mul_hi_u32 v18, v3, v13
	v_mul_hi_u32 v20, v12, v15
	v_mul_lo_u32 v15, v12, v15
	v_mul_hi_u32 v21, v12, v13
	v_mul_lo_u32 v13, v12, v13
	v_add_co_u32 v16, vcc_lo, v16, v17
	v_add_co_ci_u32_e32 v17, vcc_lo, 0, v18, vcc_lo
	s_delay_alu instid0(VALU_DEP_2) | instskip(NEXT) | instid1(VALU_DEP_2)
	v_add_co_u32 v15, vcc_lo, v16, v15
	v_add_co_ci_u32_e32 v15, vcc_lo, v17, v20, vcc_lo
	v_add_co_ci_u32_e32 v16, vcc_lo, 0, v21, vcc_lo
	v_add_co_u32 v17, vcc_lo, v10, v19
	v_add_co_ci_u32_e32 v11, vcc_lo, v11, v19, vcc_lo
	s_delay_alu instid0(VALU_DEP_4) | instskip(NEXT) | instid1(VALU_DEP_4)
	v_add_co_u32 v13, vcc_lo, v15, v13
	v_add_co_ci_u32_e32 v15, vcc_lo, 0, v16, vcc_lo
	s_delay_alu instid0(VALU_DEP_4) | instskip(NEXT) | instid1(VALU_DEP_3)
	v_xor_b32_e32 v20, v17, v19
	v_add_co_u32 v3, vcc_lo, v3, v13
	s_delay_alu instid0(VALU_DEP_3) | instskip(SKIP_1) | instid1(VALU_DEP_3)
	v_add_co_ci_u32_e32 v13, vcc_lo, v12, v15, vcc_lo
	v_xor_b32_e32 v21, v11, v19
	v_mul_hi_u32 v22, v20, v3
	s_delay_alu instid0(VALU_DEP_3) | instskip(NEXT) | instid1(VALU_DEP_3)
	v_mad_u64_u32 v[11:12], null, v20, v13, 0
	v_mad_u64_u32 v[15:16], null, v21, v3, 0
	;; [unrolled: 1-line block ×3, first 2 shown]
	s_delay_alu instid0(VALU_DEP_3) | instskip(NEXT) | instid1(VALU_DEP_4)
	v_add_co_u32 v3, vcc_lo, v22, v11
	v_add_co_ci_u32_e32 v11, vcc_lo, 0, v12, vcc_lo
	s_delay_alu instid0(VALU_DEP_2) | instskip(NEXT) | instid1(VALU_DEP_2)
	v_add_co_u32 v3, vcc_lo, v3, v15
	v_add_co_ci_u32_e32 v3, vcc_lo, v11, v16, vcc_lo
	v_add_co_ci_u32_e32 v11, vcc_lo, 0, v18, vcc_lo
	s_delay_alu instid0(VALU_DEP_2) | instskip(NEXT) | instid1(VALU_DEP_2)
	v_add_co_u32 v3, vcc_lo, v3, v17
	v_add_co_ci_u32_e32 v13, vcc_lo, 0, v11, vcc_lo
	s_delay_alu instid0(VALU_DEP_2) | instskip(SKIP_1) | instid1(VALU_DEP_3)
	v_mul_lo_u32 v15, s11, v3
	v_mad_u64_u32 v[11:12], null, s10, v3, 0
	v_mul_lo_u32 v13, s10, v13
	s_delay_alu instid0(VALU_DEP_2) | instskip(NEXT) | instid1(VALU_DEP_2)
	v_sub_co_u32 v11, vcc_lo, v20, v11
	v_add3_u32 v12, v12, v13, v15
	v_add_co_u32 v15, s0, v3, 2
	s_delay_alu instid0(VALU_DEP_2) | instskip(NEXT) | instid1(VALU_DEP_1)
	v_sub_nc_u32_e32 v13, v21, v12
	v_subrev_co_ci_u32_e64 v13, s0, s11, v13, vcc_lo
	v_sub_co_u32 v16, s0, v11, s10
	v_sub_co_ci_u32_e32 v12, vcc_lo, v21, v12, vcc_lo
	s_delay_alu instid0(VALU_DEP_3) | instskip(NEXT) | instid1(VALU_DEP_3)
	v_subrev_co_ci_u32_e64 v13, s0, 0, v13, s0
	v_cmp_le_u32_e32 vcc_lo, s10, v16
	v_cndmask_b32_e64 v16, 0, -1, vcc_lo
	s_delay_alu instid0(VALU_DEP_3)
	v_cmp_le_u32_e32 vcc_lo, s11, v13
	v_cndmask_b32_e64 v17, 0, -1, vcc_lo
	v_cmp_le_u32_e32 vcc_lo, s10, v11
	v_cndmask_b32_e64 v11, 0, -1, vcc_lo
	;; [unrolled: 2-line block ×3, first 2 shown]
	v_cmp_eq_u32_e32 vcc_lo, s11, v13
	v_cndmask_b32_e32 v13, v17, v16, vcc_lo
	v_add_co_u32 v16, vcc_lo, v3, 1
	v_cmp_eq_u32_e32 vcc_lo, s11, v12
	v_cndmask_b32_e32 v11, v18, v11, vcc_lo
	s_delay_alu instid0(VALU_DEP_4) | instskip(NEXT) | instid1(VALU_DEP_4)
	v_cmp_ne_u32_e32 vcc_lo, 0, v13
	v_cndmask_b32_e32 v12, v16, v15, vcc_lo
	s_delay_alu instid0(VALU_DEP_3) | instskip(SKIP_1) | instid1(VALU_DEP_3)
	v_cmp_ne_u32_e32 vcc_lo, 0, v11
	v_xor_b32_e32 v11, s8, v19
	v_cndmask_b32_e32 v3, v3, v12, vcc_lo
	s_delay_alu instid0(VALU_DEP_1) | instskip(NEXT) | instid1(VALU_DEP_1)
	v_xor_b32_e32 v3, v3, v11
	v_sub_co_u32 v12, vcc_lo, v3, v11
.LBB22_13:                              ;   in Loop: Header=BB22_3 Depth=1
	s_and_not1_saveexec_b32 s0, s5
	s_cbranch_execz .LBB22_2
; %bb.14:                               ;   in Loop: Header=BB22_3 Depth=1
	v_cvt_f32_u32_e32 v3, s22
	s_sub_i32 s5, 0, s22
	s_delay_alu instid0(VALU_DEP_1) | instskip(SKIP_2) | instid1(VALU_DEP_1)
	v_rcp_iflag_f32_e32 v3, v3
	s_waitcnt_depctr 0xfff
	v_mul_f32_e32 v3, 0x4f7ffffe, v3
	v_cvt_u32_f32_e32 v3, v3
	s_delay_alu instid0(VALU_DEP_1) | instskip(NEXT) | instid1(VALU_DEP_1)
	v_mul_lo_u32 v11, s5, v3
	v_mul_hi_u32 v11, v3, v11
	s_delay_alu instid0(VALU_DEP_1) | instskip(NEXT) | instid1(VALU_DEP_1)
	v_add_nc_u32_e32 v3, v3, v11
	v_mul_hi_u32 v3, v10, v3
	s_delay_alu instid0(VALU_DEP_1) | instskip(NEXT) | instid1(VALU_DEP_1)
	v_mul_lo_u32 v11, v3, s22
	v_sub_nc_u32_e32 v11, v10, v11
	s_delay_alu instid0(VALU_DEP_1) | instskip(SKIP_1) | instid1(VALU_DEP_2)
	v_subrev_nc_u32_e32 v13, s22, v11
	v_cmp_le_u32_e32 vcc_lo, s22, v11
	v_dual_cndmask_b32 v11, v11, v13 :: v_dual_add_nc_u32 v12, 1, v3
	s_delay_alu instid0(VALU_DEP_1) | instskip(NEXT) | instid1(VALU_DEP_2)
	v_cndmask_b32_e32 v3, v3, v12, vcc_lo
	v_cmp_le_u32_e32 vcc_lo, s22, v11
	s_delay_alu instid0(VALU_DEP_2) | instskip(NEXT) | instid1(VALU_DEP_1)
	v_add_nc_u32_e32 v12, 1, v3
	v_cndmask_b32_e32 v12, v3, v12, vcc_lo
	s_branch .LBB22_2
.LBB22_15:
	s_nop 0
	s_sendmsg sendmsg(MSG_DEALLOC_VGPRS)
	s_endpgm
	.section	.rodata,"a",@progbits
	.p2align	6, 0x0
	.amdhsa_kernel _ZN2at6native31max_unpooling2d_backward_kernelIsEEvlPKT_PKllllllPS2_
		.amdhsa_group_segment_fixed_size 0
		.amdhsa_private_segment_fixed_size 0
		.amdhsa_kernarg_size 328
		.amdhsa_user_sgpr_count 15
		.amdhsa_user_sgpr_dispatch_ptr 0
		.amdhsa_user_sgpr_queue_ptr 0
		.amdhsa_user_sgpr_kernarg_segment_ptr 1
		.amdhsa_user_sgpr_dispatch_id 0
		.amdhsa_user_sgpr_private_segment_size 0
		.amdhsa_wavefront_size32 1
		.amdhsa_uses_dynamic_stack 0
		.amdhsa_enable_private_segment 0
		.amdhsa_system_sgpr_workgroup_id_x 1
		.amdhsa_system_sgpr_workgroup_id_y 0
		.amdhsa_system_sgpr_workgroup_id_z 0
		.amdhsa_system_sgpr_workgroup_info 0
		.amdhsa_system_vgpr_workitem_id 0
		.amdhsa_next_free_vgpr 23
		.amdhsa_next_free_sgpr 32
		.amdhsa_reserve_vcc 1
		.amdhsa_float_round_mode_32 0
		.amdhsa_float_round_mode_16_64 0
		.amdhsa_float_denorm_mode_32 3
		.amdhsa_float_denorm_mode_16_64 3
		.amdhsa_dx10_clamp 1
		.amdhsa_ieee_mode 1
		.amdhsa_fp16_overflow 0
		.amdhsa_workgroup_processor_mode 1
		.amdhsa_memory_ordered 1
		.amdhsa_forward_progress 0
		.amdhsa_shared_vgpr_count 0
		.amdhsa_exception_fp_ieee_invalid_op 0
		.amdhsa_exception_fp_denorm_src 0
		.amdhsa_exception_fp_ieee_div_zero 0
		.amdhsa_exception_fp_ieee_overflow 0
		.amdhsa_exception_fp_ieee_underflow 0
		.amdhsa_exception_fp_ieee_inexact 0
		.amdhsa_exception_int_div_zero 0
	.end_amdhsa_kernel
	.section	.text._ZN2at6native31max_unpooling2d_backward_kernelIsEEvlPKT_PKllllllPS2_,"axG",@progbits,_ZN2at6native31max_unpooling2d_backward_kernelIsEEvlPKT_PKllllllPS2_,comdat
.Lfunc_end22:
	.size	_ZN2at6native31max_unpooling2d_backward_kernelIsEEvlPKT_PKllllllPS2_, .Lfunc_end22-_ZN2at6native31max_unpooling2d_backward_kernelIsEEvlPKT_PKllllllPS2_
                                        ; -- End function
	.section	.AMDGPU.csdata,"",@progbits
; Kernel info:
; codeLenInByte = 3388
; NumSgprs: 34
; NumVgprs: 23
; ScratchSize: 0
; MemoryBound: 0
; FloatMode: 240
; IeeeMode: 1
; LDSByteSize: 0 bytes/workgroup (compile time only)
; SGPRBlocks: 4
; VGPRBlocks: 2
; NumSGPRsForWavesPerEU: 34
; NumVGPRsForWavesPerEU: 23
; Occupancy: 16
; WaveLimiterHint : 1
; COMPUTE_PGM_RSRC2:SCRATCH_EN: 0
; COMPUTE_PGM_RSRC2:USER_SGPR: 15
; COMPUTE_PGM_RSRC2:TRAP_HANDLER: 0
; COMPUTE_PGM_RSRC2:TGID_X_EN: 1
; COMPUTE_PGM_RSRC2:TGID_Y_EN: 0
; COMPUTE_PGM_RSRC2:TGID_Z_EN: 0
; COMPUTE_PGM_RSRC2:TIDIG_COMP_CNT: 0
	.section	.text._ZN2at6native31max_unpooling2d_backward_kernelIdEEvlPKT_PKllllllPS2_,"axG",@progbits,_ZN2at6native31max_unpooling2d_backward_kernelIdEEvlPKT_PKllllllPS2_,comdat
	.protected	_ZN2at6native31max_unpooling2d_backward_kernelIdEEvlPKT_PKllllllPS2_ ; -- Begin function _ZN2at6native31max_unpooling2d_backward_kernelIdEEvlPKT_PKllllllPS2_
	.globl	_ZN2at6native31max_unpooling2d_backward_kernelIdEEvlPKT_PKllllllPS2_
	.p2align	8
	.type	_ZN2at6native31max_unpooling2d_backward_kernelIdEEvlPKT_PKllllllPS2_,@function
_ZN2at6native31max_unpooling2d_backward_kernelIdEEvlPKT_PKllllllPS2_: ; @_ZN2at6native31max_unpooling2d_backward_kernelIdEEvlPKT_PKllllllPS2_
; %bb.0:
	s_clause 0x1
	s_load_b32 s4, s[0:1], 0x54
	s_load_b512 s[16:31], s[0:1], 0x0
	v_mov_b32_e32 v2, 0
	s_add_u32 s2, s0, 0x48
	s_addc_u32 s3, s1, 0
	s_mov_b32 s5, exec_lo
	s_delay_alu instid0(VALU_DEP_1)
	v_mov_b32_e32 v1, v2
	s_waitcnt lgkmcnt(0)
	s_and_b32 s4, s4, 0xffff
	s_delay_alu instid0(VALU_DEP_1) | instid1(SALU_CYCLE_1)
	v_mad_u64_u32 v[4:5], null, s4, s15, v[0:1]
	s_delay_alu instid0(VALU_DEP_1)
	v_cmpx_gt_i64_e64 s[16:17], v[4:5]
	s_cbranch_execz .LBB23_15
; %bb.1:
	v_cvt_f32_u32_e32 v0, s26
	s_load_b32 s5, s[2:3], 0x0
	s_sub_i32 s2, 0, s26
	s_mul_hi_u32 s6, s30, s28
	s_mul_i32 s7, s31, s28
	v_rcp_iflag_f32_e32 v0, v0
	s_mov_b32 s12, 0
	s_waitcnt_depctr 0xfff
	v_dual_mov_b32 v3, v4 :: v_dual_mul_f32 v0, 0x4f7ffffe, v0
	s_delay_alu instid0(VALU_DEP_1)
	v_cvt_u32_f32_e32 v6, v0
	s_waitcnt lgkmcnt(0)
	s_mul_i32 s14, s5, s4
	s_ashr_i32 s4, s27, 31
	s_mov_b32 s15, s14
	v_mul_lo_u32 v0, s2, v6
	s_load_b64 s[2:3], s[0:1], 0x40
	s_mul_i32 s0, s30, s29
	s_mul_i32 s1, s30, s28
	s_add_i32 s0, s6, s0
	s_ashr_i32 s6, s25, 31
	s_add_i32 s13, s0, s7
	s_delay_alu instid0(VALU_DEP_1) | instskip(SKIP_1) | instid1(VALU_DEP_2)
	v_mul_hi_u32 v7, v6, v0
	v_dual_mov_b32 v0, s18 :: v_dual_mov_b32 v1, s19
	v_dual_mov_b32 v7, v3 :: v_dual_add_nc_u32 v14, v6, v7
	v_mov_b32_e32 v6, v2
	s_branch .LBB23_3
.LBB23_2:                               ;   in Loop: Header=BB23_3 Depth=1
	s_or_b32 exec_lo, exec_lo, s0
	v_lshlrev_b64 v[8:9], 3, v[8:9]
	s_delay_alu instid0(VALU_DEP_2)
	v_mul_lo_u32 v11, v12, s22
	v_ashrrev_i32_e32 v13, 31, v12
	v_mul_lo_u32 v17, v12, s23
	v_add_co_u32 v6, s0, v6, 0
	v_add_co_u32 v15, vcc_lo, s20, v8
	v_add_co_ci_u32_e32 v16, vcc_lo, s21, v9, vcc_lo
	v_sub_nc_u32_e32 v10, v10, v11
	v_mul_lo_u32 v13, v13, s22
	v_add_co_ci_u32_e64 v7, s0, s15, v7, s0
	global_load_b32 v3, v[15:16], off
	v_ashrrev_i32_e32 v11, 31, v10
	s_delay_alu instid0(VALU_DEP_1) | instskip(NEXT) | instid1(VALU_DEP_1)
	v_mad_u64_u32 v[15:16], null, v12, s22, v[10:11]
	v_add3_u32 v12, v13, v16, v17
	s_delay_alu instid0(VALU_DEP_2) | instskip(SKIP_1) | instid1(VALU_DEP_3)
	v_mul_lo_u32 v13, s13, v15
	v_mad_u64_u32 v[10:11], null, s1, v15, 0
	v_mul_lo_u32 v12, s1, v12
	s_delay_alu instid0(VALU_DEP_1) | instskip(NEXT) | instid1(VALU_DEP_1)
	v_add3_u32 v11, v11, v12, v13
	v_lshlrev_b64 v[10:11], 3, v[10:11]
	s_delay_alu instid0(VALU_DEP_1) | instskip(NEXT) | instid1(VALU_DEP_2)
	v_add_co_u32 v0, vcc_lo, v0, v10
	v_add_co_ci_u32_e32 v1, vcc_lo, v1, v11, vcc_lo
	s_waitcnt vmcnt(0)
	v_ashrrev_i64 v[12:13], 29, v[2:3]
	s_delay_alu instid0(VALU_DEP_1) | instskip(NEXT) | instid1(VALU_DEP_2)
	v_add_co_u32 v10, vcc_lo, v0, v12
	v_add_co_ci_u32_e32 v11, vcc_lo, v1, v13, vcc_lo
	v_add_co_u32 v4, vcc_lo, v4, s14
	v_add_co_ci_u32_e32 v5, vcc_lo, 0, v5, vcc_lo
	global_load_b64 v[10:11], v[10:11], off
	s_waitcnt lgkmcnt(0)
	v_add_co_u32 v8, vcc_lo, s2, v8
	v_add_co_ci_u32_e32 v9, vcc_lo, s3, v9, vcc_lo
	v_cmp_le_i64_e32 vcc_lo, s[16:17], v[4:5]
	s_or_b32 s12, vcc_lo, s12
	s_waitcnt vmcnt(0)
	global_store_b64 v[8:9], v[10:11], off
	s_and_not1_b32 exec_lo, exec_lo, s12
	s_cbranch_execz .LBB23_15
.LBB23_3:                               ; =>This Inner Loop Header: Depth=1
	s_delay_alu instid0(VALU_DEP_2) | instskip(SKIP_2) | instid1(VALU_DEP_2)
	v_ashrrev_i32_e32 v9, 31, v7
	v_mov_b32_e32 v8, v7
                                        ; implicit-def: $vgpr12_vgpr13
	s_mov_b32 s0, exec_lo
	v_or_b32_e32 v3, s27, v9
	s_delay_alu instid0(VALU_DEP_1)
	v_cmpx_ne_u64_e32 0, v[2:3]
	s_xor_b32 s7, exec_lo, s0
	s_cbranch_execz .LBB23_5
; %bb.4:                                ;   in Loop: Header=BB23_3 Depth=1
	s_add_u32 s8, s26, s4
	s_mov_b32 s5, s4
	s_addc_u32 s9, s27, s4
	s_delay_alu instid0(SALU_CYCLE_1) | instskip(NEXT) | instid1(SALU_CYCLE_1)
	s_xor_b64 s[8:9], s[8:9], s[4:5]
	v_cvt_f32_u32_e32 v3, s8
	v_cvt_f32_u32_e32 v10, s9
	s_sub_u32 s0, 0, s8
	s_subb_u32 s5, 0, s9
	s_delay_alu instid0(VALU_DEP_1) | instskip(NEXT) | instid1(VALU_DEP_1)
	v_fmac_f32_e32 v3, 0x4f800000, v10
	v_rcp_f32_e32 v3, v3
	s_waitcnt_depctr 0xfff
	v_mul_f32_e32 v3, 0x5f7ffffc, v3
	s_delay_alu instid0(VALU_DEP_1) | instskip(NEXT) | instid1(VALU_DEP_1)
	v_mul_f32_e32 v10, 0x2f800000, v3
	v_trunc_f32_e32 v10, v10
	s_delay_alu instid0(VALU_DEP_1) | instskip(SKIP_1) | instid1(VALU_DEP_2)
	v_fmac_f32_e32 v3, 0xcf800000, v10
	v_cvt_u32_f32_e32 v10, v10
	v_cvt_u32_f32_e32 v3, v3
	s_delay_alu instid0(VALU_DEP_2) | instskip(NEXT) | instid1(VALU_DEP_2)
	v_mul_lo_u32 v11, s0, v10
	v_mul_hi_u32 v12, s0, v3
	v_mul_lo_u32 v13, s5, v3
	s_delay_alu instid0(VALU_DEP_2) | instskip(SKIP_1) | instid1(VALU_DEP_2)
	v_add_nc_u32_e32 v11, v12, v11
	v_mul_lo_u32 v12, s0, v3
	v_add_nc_u32_e32 v11, v11, v13
	s_delay_alu instid0(VALU_DEP_2) | instskip(NEXT) | instid1(VALU_DEP_2)
	v_mul_hi_u32 v13, v3, v12
	v_mul_lo_u32 v15, v3, v11
	v_mul_hi_u32 v16, v3, v11
	v_mul_hi_u32 v17, v10, v12
	v_mul_lo_u32 v12, v10, v12
	v_mul_hi_u32 v18, v10, v11
	v_mul_lo_u32 v11, v10, v11
	v_add_co_u32 v13, vcc_lo, v13, v15
	v_add_co_ci_u32_e32 v15, vcc_lo, 0, v16, vcc_lo
	s_delay_alu instid0(VALU_DEP_2) | instskip(NEXT) | instid1(VALU_DEP_2)
	v_add_co_u32 v12, vcc_lo, v13, v12
	v_add_co_ci_u32_e32 v12, vcc_lo, v15, v17, vcc_lo
	v_add_co_ci_u32_e32 v13, vcc_lo, 0, v18, vcc_lo
	v_ashrrev_i32_e32 v17, 31, v9
	s_delay_alu instid0(VALU_DEP_3) | instskip(NEXT) | instid1(VALU_DEP_3)
	v_add_co_u32 v11, vcc_lo, v12, v11
	v_add_co_ci_u32_e32 v12, vcc_lo, 0, v13, vcc_lo
	s_delay_alu instid0(VALU_DEP_2) | instskip(NEXT) | instid1(VALU_DEP_2)
	v_add_co_u32 v3, vcc_lo, v3, v11
	v_add_co_ci_u32_e32 v10, vcc_lo, v10, v12, vcc_lo
	s_delay_alu instid0(VALU_DEP_2) | instskip(SKIP_1) | instid1(VALU_DEP_3)
	v_mul_hi_u32 v11, s0, v3
	v_mul_lo_u32 v13, s5, v3
	v_mul_lo_u32 v12, s0, v10
	s_delay_alu instid0(VALU_DEP_1) | instskip(SKIP_1) | instid1(VALU_DEP_2)
	v_add_nc_u32_e32 v11, v11, v12
	v_mul_lo_u32 v12, s0, v3
	v_add_nc_u32_e32 v11, v11, v13
	s_delay_alu instid0(VALU_DEP_2) | instskip(NEXT) | instid1(VALU_DEP_2)
	v_mul_hi_u32 v13, v3, v12
	v_mul_lo_u32 v15, v3, v11
	v_mul_hi_u32 v16, v3, v11
	v_mul_hi_u32 v18, v10, v12
	v_mul_lo_u32 v12, v10, v12
	v_mul_hi_u32 v19, v10, v11
	v_mul_lo_u32 v11, v10, v11
	v_add_co_u32 v13, vcc_lo, v13, v15
	v_add_co_ci_u32_e32 v15, vcc_lo, 0, v16, vcc_lo
	s_delay_alu instid0(VALU_DEP_2) | instskip(NEXT) | instid1(VALU_DEP_2)
	v_add_co_u32 v12, vcc_lo, v13, v12
	v_add_co_ci_u32_e32 v12, vcc_lo, v15, v18, vcc_lo
	v_add_co_ci_u32_e32 v13, vcc_lo, 0, v19, vcc_lo
	v_add_co_u32 v15, vcc_lo, v8, v17
	v_add_co_ci_u32_e32 v16, vcc_lo, v9, v17, vcc_lo
	s_delay_alu instid0(VALU_DEP_4) | instskip(NEXT) | instid1(VALU_DEP_4)
	v_add_co_u32 v11, vcc_lo, v12, v11
	v_add_co_ci_u32_e32 v12, vcc_lo, 0, v13, vcc_lo
	s_delay_alu instid0(VALU_DEP_4) | instskip(NEXT) | instid1(VALU_DEP_3)
	v_xor_b32_e32 v18, v15, v17
	v_add_co_u32 v3, vcc_lo, v3, v11
	s_delay_alu instid0(VALU_DEP_3) | instskip(SKIP_1) | instid1(VALU_DEP_3)
	v_add_co_ci_u32_e32 v19, vcc_lo, v10, v12, vcc_lo
	v_xor_b32_e32 v20, v16, v17
	v_mul_hi_u32 v21, v18, v3
	s_delay_alu instid0(VALU_DEP_3) | instskip(NEXT) | instid1(VALU_DEP_3)
	v_mad_u64_u32 v[10:11], null, v18, v19, 0
	v_mad_u64_u32 v[12:13], null, v20, v3, 0
	;; [unrolled: 1-line block ×3, first 2 shown]
	s_delay_alu instid0(VALU_DEP_3) | instskip(NEXT) | instid1(VALU_DEP_4)
	v_add_co_u32 v3, vcc_lo, v21, v10
	v_add_co_ci_u32_e32 v10, vcc_lo, 0, v11, vcc_lo
	s_delay_alu instid0(VALU_DEP_2) | instskip(NEXT) | instid1(VALU_DEP_2)
	v_add_co_u32 v3, vcc_lo, v3, v12
	v_add_co_ci_u32_e32 v3, vcc_lo, v10, v13, vcc_lo
	v_add_co_ci_u32_e32 v10, vcc_lo, 0, v16, vcc_lo
	s_delay_alu instid0(VALU_DEP_2) | instskip(NEXT) | instid1(VALU_DEP_2)
	v_add_co_u32 v3, vcc_lo, v3, v15
	v_add_co_ci_u32_e32 v12, vcc_lo, 0, v10, vcc_lo
	s_delay_alu instid0(VALU_DEP_2) | instskip(SKIP_1) | instid1(VALU_DEP_3)
	v_mul_lo_u32 v13, s9, v3
	v_mad_u64_u32 v[10:11], null, s8, v3, 0
	v_mul_lo_u32 v15, s8, v12
	s_delay_alu instid0(VALU_DEP_2) | instskip(NEXT) | instid1(VALU_DEP_2)
	v_sub_co_u32 v10, vcc_lo, v18, v10
	v_add3_u32 v11, v11, v15, v13
	s_delay_alu instid0(VALU_DEP_1) | instskip(NEXT) | instid1(VALU_DEP_1)
	v_sub_nc_u32_e32 v13, v20, v11
	v_subrev_co_ci_u32_e64 v13, s0, s9, v13, vcc_lo
	v_add_co_u32 v15, s0, v3, 2
	s_delay_alu instid0(VALU_DEP_1) | instskip(SKIP_3) | instid1(VALU_DEP_3)
	v_add_co_ci_u32_e64 v16, s0, 0, v12, s0
	v_sub_co_u32 v18, s0, v10, s8
	v_sub_co_ci_u32_e32 v11, vcc_lo, v20, v11, vcc_lo
	v_subrev_co_ci_u32_e64 v13, s0, 0, v13, s0
	v_cmp_le_u32_e32 vcc_lo, s8, v18
	s_delay_alu instid0(VALU_DEP_3) | instskip(SKIP_1) | instid1(VALU_DEP_4)
	v_cmp_eq_u32_e64 s0, s9, v11
	v_cndmask_b32_e64 v18, 0, -1, vcc_lo
	v_cmp_le_u32_e32 vcc_lo, s9, v13
	v_cndmask_b32_e64 v19, 0, -1, vcc_lo
	v_cmp_le_u32_e32 vcc_lo, s8, v10
	;; [unrolled: 2-line block ×3, first 2 shown]
	v_cndmask_b32_e64 v20, 0, -1, vcc_lo
	v_cmp_eq_u32_e32 vcc_lo, s9, v13
	s_delay_alu instid0(VALU_DEP_2) | instskip(SKIP_3) | instid1(VALU_DEP_3)
	v_cndmask_b32_e64 v10, v20, v10, s0
	v_cndmask_b32_e32 v13, v19, v18, vcc_lo
	v_add_co_u32 v18, vcc_lo, v3, 1
	v_add_co_ci_u32_e32 v19, vcc_lo, 0, v12, vcc_lo
	v_cmp_ne_u32_e32 vcc_lo, 0, v13
	s_delay_alu instid0(VALU_DEP_2) | instskip(NEXT) | instid1(VALU_DEP_4)
	v_cndmask_b32_e32 v11, v19, v16, vcc_lo
	v_cndmask_b32_e32 v13, v18, v15, vcc_lo
	v_cmp_ne_u32_e32 vcc_lo, 0, v10
	v_xor_b32_e32 v10, s4, v17
	s_delay_alu instid0(VALU_DEP_3) | instskip(SKIP_1) | instid1(VALU_DEP_2)
	v_cndmask_b32_e32 v3, v3, v13, vcc_lo
	v_cndmask_b32_e32 v11, v12, v11, vcc_lo
	v_xor_b32_e32 v3, v3, v10
	s_delay_alu instid0(VALU_DEP_2) | instskip(NEXT) | instid1(VALU_DEP_2)
	v_xor_b32_e32 v11, v11, v10
	v_sub_co_u32 v12, vcc_lo, v3, v10
	s_delay_alu instid0(VALU_DEP_2)
	v_sub_co_ci_u32_e32 v13, vcc_lo, v11, v10, vcc_lo
.LBB23_5:                               ;   in Loop: Header=BB23_3 Depth=1
	s_and_not1_saveexec_b32 s0, s7
; %bb.6:                                ;   in Loop: Header=BB23_3 Depth=1
	v_mul_hi_u32 v3, v7, v14
	v_mov_b32_e32 v13, v2
	s_delay_alu instid0(VALU_DEP_2) | instskip(NEXT) | instid1(VALU_DEP_1)
	v_mul_lo_u32 v10, v3, s26
	v_sub_nc_u32_e32 v10, v7, v10
	s_delay_alu instid0(VALU_DEP_1) | instskip(SKIP_1) | instid1(VALU_DEP_2)
	v_subrev_nc_u32_e32 v12, s26, v10
	v_cmp_le_u32_e32 vcc_lo, s26, v10
	v_dual_cndmask_b32 v10, v10, v12 :: v_dual_add_nc_u32 v11, 1, v3
	s_delay_alu instid0(VALU_DEP_1) | instskip(NEXT) | instid1(VALU_DEP_2)
	v_cndmask_b32_e32 v3, v3, v11, vcc_lo
	v_cmp_le_u32_e32 vcc_lo, s26, v10
	s_delay_alu instid0(VALU_DEP_2) | instskip(NEXT) | instid1(VALU_DEP_1)
	v_add_nc_u32_e32 v11, 1, v3
	v_cndmask_b32_e32 v12, v3, v11, vcc_lo
; %bb.7:                                ;   in Loop: Header=BB23_3 Depth=1
	s_or_b32 exec_lo, exec_lo, s0
	v_or_b32_e32 v3, s25, v13
                                        ; implicit-def: $vgpr10_vgpr11
	s_mov_b32 s0, exec_lo
	s_delay_alu instid0(VALU_DEP_1)
	v_cmpx_ne_u64_e32 0, v[2:3]
	s_xor_b32 s5, exec_lo, s0
	s_cbranch_execz .LBB23_9
; %bb.8:                                ;   in Loop: Header=BB23_3 Depth=1
	s_add_u32 s8, s24, s6
	s_mov_b32 s7, s6
	s_addc_u32 s9, s25, s6
	s_delay_alu instid0(SALU_CYCLE_1) | instskip(NEXT) | instid1(SALU_CYCLE_1)
	s_xor_b64 s[8:9], s[8:9], s[6:7]
	v_cvt_f32_u32_e32 v3, s8
	v_cvt_f32_u32_e32 v10, s9
	s_sub_u32 s0, 0, s8
	s_subb_u32 s7, 0, s9
	s_delay_alu instid0(VALU_DEP_1) | instskip(NEXT) | instid1(VALU_DEP_1)
	v_fmac_f32_e32 v3, 0x4f800000, v10
	v_rcp_f32_e32 v3, v3
	s_waitcnt_depctr 0xfff
	v_mul_f32_e32 v3, 0x5f7ffffc, v3
	s_delay_alu instid0(VALU_DEP_1) | instskip(NEXT) | instid1(VALU_DEP_1)
	v_mul_f32_e32 v10, 0x2f800000, v3
	v_trunc_f32_e32 v10, v10
	s_delay_alu instid0(VALU_DEP_1) | instskip(SKIP_1) | instid1(VALU_DEP_2)
	v_fmac_f32_e32 v3, 0xcf800000, v10
	v_cvt_u32_f32_e32 v10, v10
	v_cvt_u32_f32_e32 v3, v3
	s_delay_alu instid0(VALU_DEP_2) | instskip(NEXT) | instid1(VALU_DEP_2)
	v_mul_lo_u32 v11, s0, v10
	v_mul_hi_u32 v15, s0, v3
	v_mul_lo_u32 v16, s7, v3
	s_delay_alu instid0(VALU_DEP_2) | instskip(SKIP_1) | instid1(VALU_DEP_2)
	v_add_nc_u32_e32 v11, v15, v11
	v_mul_lo_u32 v15, s0, v3
	v_add_nc_u32_e32 v11, v11, v16
	s_delay_alu instid0(VALU_DEP_2) | instskip(NEXT) | instid1(VALU_DEP_2)
	v_mul_hi_u32 v16, v3, v15
	v_mul_lo_u32 v17, v3, v11
	v_mul_hi_u32 v18, v3, v11
	v_mul_hi_u32 v19, v10, v15
	v_mul_lo_u32 v15, v10, v15
	v_mul_hi_u32 v20, v10, v11
	v_mul_lo_u32 v11, v10, v11
	v_add_co_u32 v16, vcc_lo, v16, v17
	v_add_co_ci_u32_e32 v17, vcc_lo, 0, v18, vcc_lo
	s_delay_alu instid0(VALU_DEP_2) | instskip(NEXT) | instid1(VALU_DEP_2)
	v_add_co_u32 v15, vcc_lo, v16, v15
	v_add_co_ci_u32_e32 v15, vcc_lo, v17, v19, vcc_lo
	v_add_co_ci_u32_e32 v16, vcc_lo, 0, v20, vcc_lo
	v_ashrrev_i32_e32 v19, 31, v13
	s_delay_alu instid0(VALU_DEP_3) | instskip(NEXT) | instid1(VALU_DEP_3)
	v_add_co_u32 v11, vcc_lo, v15, v11
	v_add_co_ci_u32_e32 v15, vcc_lo, 0, v16, vcc_lo
	s_delay_alu instid0(VALU_DEP_2) | instskip(NEXT) | instid1(VALU_DEP_2)
	v_add_co_u32 v3, vcc_lo, v3, v11
	v_add_co_ci_u32_e32 v10, vcc_lo, v10, v15, vcc_lo
	s_delay_alu instid0(VALU_DEP_2) | instskip(SKIP_1) | instid1(VALU_DEP_3)
	v_mul_hi_u32 v11, s0, v3
	v_mul_lo_u32 v16, s7, v3
	v_mul_lo_u32 v15, s0, v10
	s_delay_alu instid0(VALU_DEP_1) | instskip(SKIP_1) | instid1(VALU_DEP_2)
	v_add_nc_u32_e32 v11, v11, v15
	v_mul_lo_u32 v15, s0, v3
	v_add_nc_u32_e32 v11, v11, v16
	s_delay_alu instid0(VALU_DEP_2) | instskip(NEXT) | instid1(VALU_DEP_2)
	v_mul_hi_u32 v16, v3, v15
	v_mul_lo_u32 v17, v3, v11
	v_mul_hi_u32 v18, v3, v11
	v_mul_hi_u32 v20, v10, v15
	v_mul_lo_u32 v15, v10, v15
	v_mul_hi_u32 v21, v10, v11
	v_mul_lo_u32 v11, v10, v11
	v_add_co_u32 v16, vcc_lo, v16, v17
	v_add_co_ci_u32_e32 v17, vcc_lo, 0, v18, vcc_lo
	s_delay_alu instid0(VALU_DEP_2) | instskip(NEXT) | instid1(VALU_DEP_2)
	v_add_co_u32 v15, vcc_lo, v16, v15
	v_add_co_ci_u32_e32 v15, vcc_lo, v17, v20, vcc_lo
	v_add_co_ci_u32_e32 v16, vcc_lo, 0, v21, vcc_lo
	v_add_co_u32 v12, vcc_lo, v12, v19
	v_add_co_ci_u32_e32 v13, vcc_lo, v13, v19, vcc_lo
	s_delay_alu instid0(VALU_DEP_4) | instskip(NEXT) | instid1(VALU_DEP_4)
	v_add_co_u32 v11, vcc_lo, v15, v11
	v_add_co_ci_u32_e32 v15, vcc_lo, 0, v16, vcc_lo
	s_delay_alu instid0(VALU_DEP_4) | instskip(NEXT) | instid1(VALU_DEP_3)
	v_xor_b32_e32 v17, v12, v19
	v_add_co_u32 v3, vcc_lo, v3, v11
	s_delay_alu instid0(VALU_DEP_3) | instskip(SKIP_1) | instid1(VALU_DEP_3)
	v_add_co_ci_u32_e32 v18, vcc_lo, v10, v15, vcc_lo
	v_xor_b32_e32 v20, v13, v19
	v_mul_hi_u32 v21, v17, v3
	s_delay_alu instid0(VALU_DEP_3) | instskip(NEXT) | instid1(VALU_DEP_3)
	v_mad_u64_u32 v[10:11], null, v17, v18, 0
	v_mad_u64_u32 v[12:13], null, v20, v3, 0
	;; [unrolled: 1-line block ×3, first 2 shown]
	s_delay_alu instid0(VALU_DEP_3) | instskip(NEXT) | instid1(VALU_DEP_4)
	v_add_co_u32 v3, vcc_lo, v21, v10
	v_add_co_ci_u32_e32 v10, vcc_lo, 0, v11, vcc_lo
	s_delay_alu instid0(VALU_DEP_2) | instskip(NEXT) | instid1(VALU_DEP_2)
	v_add_co_u32 v3, vcc_lo, v3, v12
	v_add_co_ci_u32_e32 v3, vcc_lo, v10, v13, vcc_lo
	v_add_co_ci_u32_e32 v10, vcc_lo, 0, v16, vcc_lo
	s_delay_alu instid0(VALU_DEP_2) | instskip(NEXT) | instid1(VALU_DEP_2)
	v_add_co_u32 v3, vcc_lo, v3, v15
	v_add_co_ci_u32_e32 v12, vcc_lo, 0, v10, vcc_lo
	s_delay_alu instid0(VALU_DEP_2) | instskip(SKIP_1) | instid1(VALU_DEP_3)
	v_mul_lo_u32 v13, s9, v3
	v_mad_u64_u32 v[10:11], null, s8, v3, 0
	v_mul_lo_u32 v15, s8, v12
	s_delay_alu instid0(VALU_DEP_2) | instskip(NEXT) | instid1(VALU_DEP_2)
	v_sub_co_u32 v10, vcc_lo, v17, v10
	v_add3_u32 v11, v11, v15, v13
	s_delay_alu instid0(VALU_DEP_1) | instskip(NEXT) | instid1(VALU_DEP_1)
	v_sub_nc_u32_e32 v13, v20, v11
	v_subrev_co_ci_u32_e64 v13, s0, s9, v13, vcc_lo
	v_add_co_u32 v15, s0, v3, 2
	s_delay_alu instid0(VALU_DEP_1) | instskip(SKIP_3) | instid1(VALU_DEP_3)
	v_add_co_ci_u32_e64 v16, s0, 0, v12, s0
	v_sub_co_u32 v17, s0, v10, s8
	v_sub_co_ci_u32_e32 v11, vcc_lo, v20, v11, vcc_lo
	v_subrev_co_ci_u32_e64 v13, s0, 0, v13, s0
	v_cmp_le_u32_e32 vcc_lo, s8, v17
	s_delay_alu instid0(VALU_DEP_3) | instskip(SKIP_1) | instid1(VALU_DEP_4)
	v_cmp_eq_u32_e64 s0, s9, v11
	v_cndmask_b32_e64 v17, 0, -1, vcc_lo
	v_cmp_le_u32_e32 vcc_lo, s9, v13
	v_cndmask_b32_e64 v18, 0, -1, vcc_lo
	v_cmp_le_u32_e32 vcc_lo, s8, v10
	;; [unrolled: 2-line block ×3, first 2 shown]
	v_cndmask_b32_e64 v20, 0, -1, vcc_lo
	v_cmp_eq_u32_e32 vcc_lo, s9, v13
	s_delay_alu instid0(VALU_DEP_2) | instskip(SKIP_3) | instid1(VALU_DEP_3)
	v_cndmask_b32_e64 v10, v20, v10, s0
	v_cndmask_b32_e32 v13, v18, v17, vcc_lo
	v_add_co_u32 v17, vcc_lo, v3, 1
	v_add_co_ci_u32_e32 v18, vcc_lo, 0, v12, vcc_lo
	v_cmp_ne_u32_e32 vcc_lo, 0, v13
	s_delay_alu instid0(VALU_DEP_2) | instskip(NEXT) | instid1(VALU_DEP_4)
	v_cndmask_b32_e32 v11, v18, v16, vcc_lo
	v_cndmask_b32_e32 v13, v17, v15, vcc_lo
	v_cmp_ne_u32_e32 vcc_lo, 0, v10
	v_xor_b32_e32 v15, s6, v19
	s_delay_alu instid0(VALU_DEP_3) | instskip(NEXT) | instid1(VALU_DEP_1)
	v_dual_cndmask_b32 v3, v3, v13 :: v_dual_cndmask_b32 v10, v12, v11
                                        ; implicit-def: $vgpr12_vgpr13
	v_xor_b32_e32 v3, v3, v15
	s_delay_alu instid0(VALU_DEP_2) | instskip(NEXT) | instid1(VALU_DEP_2)
	v_xor_b32_e32 v11, v10, v15
	v_sub_co_u32 v10, vcc_lo, v3, v15
	s_delay_alu instid0(VALU_DEP_2)
	v_sub_co_ci_u32_e32 v11, vcc_lo, v11, v15, vcc_lo
.LBB23_9:                               ;   in Loop: Header=BB23_3 Depth=1
	s_and_not1_saveexec_b32 s0, s5
	s_cbranch_execz .LBB23_11
; %bb.10:                               ;   in Loop: Header=BB23_3 Depth=1
	v_cvt_f32_u32_e32 v3, s24
	s_sub_i32 s5, 0, s24
	s_delay_alu instid0(VALU_DEP_1) | instskip(SKIP_2) | instid1(VALU_DEP_1)
	v_rcp_iflag_f32_e32 v3, v3
	s_waitcnt_depctr 0xfff
	v_mul_f32_e32 v3, 0x4f7ffffe, v3
	v_cvt_u32_f32_e32 v3, v3
	s_delay_alu instid0(VALU_DEP_1) | instskip(NEXT) | instid1(VALU_DEP_1)
	v_mul_lo_u32 v10, s5, v3
	v_mul_hi_u32 v10, v3, v10
	s_delay_alu instid0(VALU_DEP_1) | instskip(NEXT) | instid1(VALU_DEP_1)
	v_add_nc_u32_e32 v3, v3, v10
	v_mul_hi_u32 v3, v12, v3
	s_delay_alu instid0(VALU_DEP_1) | instskip(SKIP_1) | instid1(VALU_DEP_2)
	v_mul_lo_u32 v10, v3, s24
	v_add_nc_u32_e32 v11, 1, v3
	v_sub_nc_u32_e32 v10, v12, v10
	s_delay_alu instid0(VALU_DEP_1) | instskip(SKIP_1) | instid1(VALU_DEP_2)
	v_subrev_nc_u32_e32 v12, s24, v10
	v_cmp_le_u32_e32 vcc_lo, s24, v10
	v_dual_cndmask_b32 v10, v10, v12 :: v_dual_cndmask_b32 v3, v3, v11
	s_delay_alu instid0(VALU_DEP_1) | instskip(NEXT) | instid1(VALU_DEP_2)
	v_cmp_le_u32_e32 vcc_lo, s24, v10
	v_add_nc_u32_e32 v11, 1, v3
	s_delay_alu instid0(VALU_DEP_1)
	v_dual_cndmask_b32 v10, v3, v11 :: v_dual_mov_b32 v11, v2
.LBB23_11:                              ;   in Loop: Header=BB23_3 Depth=1
	s_or_b32 exec_lo, exec_lo, s0
	s_delay_alu instid0(VALU_DEP_1) | instskip(SKIP_1) | instid1(VALU_DEP_1)
	v_or_b32_e32 v3, s23, v11
                                        ; implicit-def: $vgpr12_vgpr13
	s_mov_b32 s0, exec_lo
	v_cmpx_ne_u64_e32 0, v[2:3]
	s_xor_b32 s5, exec_lo, s0
	s_cbranch_execz .LBB23_13
; %bb.12:                               ;   in Loop: Header=BB23_3 Depth=1
	s_ashr_i32 s8, s23, 31
	s_delay_alu instid0(SALU_CYCLE_1) | instskip(SKIP_2) | instid1(SALU_CYCLE_1)
	s_add_u32 s10, s22, s8
	s_mov_b32 s9, s8
	s_addc_u32 s11, s23, s8
	s_xor_b64 s[10:11], s[10:11], s[8:9]
	s_delay_alu instid0(SALU_CYCLE_1) | instskip(SKIP_3) | instid1(VALU_DEP_1)
	v_cvt_f32_u32_e32 v3, s10
	v_cvt_f32_u32_e32 v12, s11
	s_sub_u32 s0, 0, s10
	s_subb_u32 s7, 0, s11
	v_fmac_f32_e32 v3, 0x4f800000, v12
	s_delay_alu instid0(VALU_DEP_1) | instskip(SKIP_2) | instid1(VALU_DEP_1)
	v_rcp_f32_e32 v3, v3
	s_waitcnt_depctr 0xfff
	v_mul_f32_e32 v3, 0x5f7ffffc, v3
	v_mul_f32_e32 v12, 0x2f800000, v3
	s_delay_alu instid0(VALU_DEP_1) | instskip(NEXT) | instid1(VALU_DEP_1)
	v_trunc_f32_e32 v12, v12
	v_fmac_f32_e32 v3, 0xcf800000, v12
	v_cvt_u32_f32_e32 v12, v12
	s_delay_alu instid0(VALU_DEP_2) | instskip(NEXT) | instid1(VALU_DEP_2)
	v_cvt_u32_f32_e32 v3, v3
	v_mul_lo_u32 v13, s0, v12
	s_delay_alu instid0(VALU_DEP_2) | instskip(SKIP_1) | instid1(VALU_DEP_2)
	v_mul_hi_u32 v15, s0, v3
	v_mul_lo_u32 v16, s7, v3
	v_add_nc_u32_e32 v13, v15, v13
	v_mul_lo_u32 v15, s0, v3
	s_delay_alu instid0(VALU_DEP_2) | instskip(NEXT) | instid1(VALU_DEP_2)
	v_add_nc_u32_e32 v13, v13, v16
	v_mul_hi_u32 v16, v3, v15
	s_delay_alu instid0(VALU_DEP_2)
	v_mul_lo_u32 v17, v3, v13
	v_mul_hi_u32 v18, v3, v13
	v_mul_hi_u32 v19, v12, v15
	v_mul_lo_u32 v15, v12, v15
	v_mul_hi_u32 v20, v12, v13
	v_mul_lo_u32 v13, v12, v13
	v_add_co_u32 v16, vcc_lo, v16, v17
	v_add_co_ci_u32_e32 v17, vcc_lo, 0, v18, vcc_lo
	s_delay_alu instid0(VALU_DEP_2) | instskip(NEXT) | instid1(VALU_DEP_2)
	v_add_co_u32 v15, vcc_lo, v16, v15
	v_add_co_ci_u32_e32 v15, vcc_lo, v17, v19, vcc_lo
	v_add_co_ci_u32_e32 v16, vcc_lo, 0, v20, vcc_lo
	v_ashrrev_i32_e32 v19, 31, v11
	s_delay_alu instid0(VALU_DEP_3) | instskip(NEXT) | instid1(VALU_DEP_3)
	v_add_co_u32 v13, vcc_lo, v15, v13
	v_add_co_ci_u32_e32 v15, vcc_lo, 0, v16, vcc_lo
	s_delay_alu instid0(VALU_DEP_2) | instskip(NEXT) | instid1(VALU_DEP_2)
	v_add_co_u32 v3, vcc_lo, v3, v13
	v_add_co_ci_u32_e32 v12, vcc_lo, v12, v15, vcc_lo
	s_delay_alu instid0(VALU_DEP_2) | instskip(SKIP_1) | instid1(VALU_DEP_3)
	v_mul_hi_u32 v13, s0, v3
	v_mul_lo_u32 v16, s7, v3
	v_mul_lo_u32 v15, s0, v12
	s_delay_alu instid0(VALU_DEP_1) | instskip(SKIP_1) | instid1(VALU_DEP_2)
	v_add_nc_u32_e32 v13, v13, v15
	v_mul_lo_u32 v15, s0, v3
	v_add_nc_u32_e32 v13, v13, v16
	s_delay_alu instid0(VALU_DEP_2) | instskip(NEXT) | instid1(VALU_DEP_2)
	v_mul_hi_u32 v16, v3, v15
	v_mul_lo_u32 v17, v3, v13
	v_mul_hi_u32 v18, v3, v13
	v_mul_hi_u32 v20, v12, v15
	v_mul_lo_u32 v15, v12, v15
	v_mul_hi_u32 v21, v12, v13
	v_mul_lo_u32 v13, v12, v13
	v_add_co_u32 v16, vcc_lo, v16, v17
	v_add_co_ci_u32_e32 v17, vcc_lo, 0, v18, vcc_lo
	s_delay_alu instid0(VALU_DEP_2) | instskip(NEXT) | instid1(VALU_DEP_2)
	v_add_co_u32 v15, vcc_lo, v16, v15
	v_add_co_ci_u32_e32 v15, vcc_lo, v17, v20, vcc_lo
	v_add_co_ci_u32_e32 v16, vcc_lo, 0, v21, vcc_lo
	v_add_co_u32 v17, vcc_lo, v10, v19
	v_add_co_ci_u32_e32 v11, vcc_lo, v11, v19, vcc_lo
	s_delay_alu instid0(VALU_DEP_4) | instskip(NEXT) | instid1(VALU_DEP_4)
	v_add_co_u32 v13, vcc_lo, v15, v13
	v_add_co_ci_u32_e32 v15, vcc_lo, 0, v16, vcc_lo
	s_delay_alu instid0(VALU_DEP_4) | instskip(NEXT) | instid1(VALU_DEP_3)
	v_xor_b32_e32 v20, v17, v19
	v_add_co_u32 v3, vcc_lo, v3, v13
	s_delay_alu instid0(VALU_DEP_3) | instskip(SKIP_1) | instid1(VALU_DEP_3)
	v_add_co_ci_u32_e32 v13, vcc_lo, v12, v15, vcc_lo
	v_xor_b32_e32 v21, v11, v19
	v_mul_hi_u32 v22, v20, v3
	s_delay_alu instid0(VALU_DEP_3) | instskip(NEXT) | instid1(VALU_DEP_3)
	v_mad_u64_u32 v[11:12], null, v20, v13, 0
	v_mad_u64_u32 v[15:16], null, v21, v3, 0
	;; [unrolled: 1-line block ×3, first 2 shown]
	s_delay_alu instid0(VALU_DEP_3) | instskip(NEXT) | instid1(VALU_DEP_4)
	v_add_co_u32 v3, vcc_lo, v22, v11
	v_add_co_ci_u32_e32 v11, vcc_lo, 0, v12, vcc_lo
	s_delay_alu instid0(VALU_DEP_2) | instskip(NEXT) | instid1(VALU_DEP_2)
	v_add_co_u32 v3, vcc_lo, v3, v15
	v_add_co_ci_u32_e32 v3, vcc_lo, v11, v16, vcc_lo
	v_add_co_ci_u32_e32 v11, vcc_lo, 0, v18, vcc_lo
	s_delay_alu instid0(VALU_DEP_2) | instskip(NEXT) | instid1(VALU_DEP_2)
	v_add_co_u32 v3, vcc_lo, v3, v17
	v_add_co_ci_u32_e32 v13, vcc_lo, 0, v11, vcc_lo
	s_delay_alu instid0(VALU_DEP_2) | instskip(SKIP_1) | instid1(VALU_DEP_3)
	v_mul_lo_u32 v15, s11, v3
	v_mad_u64_u32 v[11:12], null, s10, v3, 0
	v_mul_lo_u32 v13, s10, v13
	s_delay_alu instid0(VALU_DEP_2) | instskip(NEXT) | instid1(VALU_DEP_2)
	v_sub_co_u32 v11, vcc_lo, v20, v11
	v_add3_u32 v12, v12, v13, v15
	v_add_co_u32 v15, s0, v3, 2
	s_delay_alu instid0(VALU_DEP_2) | instskip(NEXT) | instid1(VALU_DEP_1)
	v_sub_nc_u32_e32 v13, v21, v12
	v_subrev_co_ci_u32_e64 v13, s0, s11, v13, vcc_lo
	v_sub_co_u32 v16, s0, v11, s10
	v_sub_co_ci_u32_e32 v12, vcc_lo, v21, v12, vcc_lo
	s_delay_alu instid0(VALU_DEP_3) | instskip(NEXT) | instid1(VALU_DEP_3)
	v_subrev_co_ci_u32_e64 v13, s0, 0, v13, s0
	v_cmp_le_u32_e32 vcc_lo, s10, v16
	v_cndmask_b32_e64 v16, 0, -1, vcc_lo
	s_delay_alu instid0(VALU_DEP_3)
	v_cmp_le_u32_e32 vcc_lo, s11, v13
	v_cndmask_b32_e64 v17, 0, -1, vcc_lo
	v_cmp_le_u32_e32 vcc_lo, s10, v11
	v_cndmask_b32_e64 v11, 0, -1, vcc_lo
	;; [unrolled: 2-line block ×3, first 2 shown]
	v_cmp_eq_u32_e32 vcc_lo, s11, v13
	v_cndmask_b32_e32 v13, v17, v16, vcc_lo
	v_add_co_u32 v16, vcc_lo, v3, 1
	v_cmp_eq_u32_e32 vcc_lo, s11, v12
	v_cndmask_b32_e32 v11, v18, v11, vcc_lo
	s_delay_alu instid0(VALU_DEP_4) | instskip(NEXT) | instid1(VALU_DEP_4)
	v_cmp_ne_u32_e32 vcc_lo, 0, v13
	v_cndmask_b32_e32 v12, v16, v15, vcc_lo
	s_delay_alu instid0(VALU_DEP_3) | instskip(SKIP_1) | instid1(VALU_DEP_3)
	v_cmp_ne_u32_e32 vcc_lo, 0, v11
	v_xor_b32_e32 v11, s8, v19
	v_cndmask_b32_e32 v3, v3, v12, vcc_lo
	s_delay_alu instid0(VALU_DEP_1) | instskip(NEXT) | instid1(VALU_DEP_1)
	v_xor_b32_e32 v3, v3, v11
	v_sub_co_u32 v12, vcc_lo, v3, v11
.LBB23_13:                              ;   in Loop: Header=BB23_3 Depth=1
	s_and_not1_saveexec_b32 s0, s5
	s_cbranch_execz .LBB23_2
; %bb.14:                               ;   in Loop: Header=BB23_3 Depth=1
	v_cvt_f32_u32_e32 v3, s22
	s_sub_i32 s5, 0, s22
	s_delay_alu instid0(VALU_DEP_1) | instskip(SKIP_2) | instid1(VALU_DEP_1)
	v_rcp_iflag_f32_e32 v3, v3
	s_waitcnt_depctr 0xfff
	v_mul_f32_e32 v3, 0x4f7ffffe, v3
	v_cvt_u32_f32_e32 v3, v3
	s_delay_alu instid0(VALU_DEP_1) | instskip(NEXT) | instid1(VALU_DEP_1)
	v_mul_lo_u32 v11, s5, v3
	v_mul_hi_u32 v11, v3, v11
	s_delay_alu instid0(VALU_DEP_1) | instskip(NEXT) | instid1(VALU_DEP_1)
	v_add_nc_u32_e32 v3, v3, v11
	v_mul_hi_u32 v3, v10, v3
	s_delay_alu instid0(VALU_DEP_1) | instskip(NEXT) | instid1(VALU_DEP_1)
	v_mul_lo_u32 v11, v3, s22
	v_sub_nc_u32_e32 v11, v10, v11
	s_delay_alu instid0(VALU_DEP_1) | instskip(SKIP_1) | instid1(VALU_DEP_2)
	v_subrev_nc_u32_e32 v13, s22, v11
	v_cmp_le_u32_e32 vcc_lo, s22, v11
	v_dual_cndmask_b32 v11, v11, v13 :: v_dual_add_nc_u32 v12, 1, v3
	s_delay_alu instid0(VALU_DEP_1) | instskip(NEXT) | instid1(VALU_DEP_2)
	v_cndmask_b32_e32 v3, v3, v12, vcc_lo
	v_cmp_le_u32_e32 vcc_lo, s22, v11
	s_delay_alu instid0(VALU_DEP_2) | instskip(NEXT) | instid1(VALU_DEP_1)
	v_add_nc_u32_e32 v12, 1, v3
	v_cndmask_b32_e32 v12, v3, v12, vcc_lo
	s_branch .LBB23_2
.LBB23_15:
	s_nop 0
	s_sendmsg sendmsg(MSG_DEALLOC_VGPRS)
	s_endpgm
	.section	.rodata,"a",@progbits
	.p2align	6, 0x0
	.amdhsa_kernel _ZN2at6native31max_unpooling2d_backward_kernelIdEEvlPKT_PKllllllPS2_
		.amdhsa_group_segment_fixed_size 0
		.amdhsa_private_segment_fixed_size 0
		.amdhsa_kernarg_size 328
		.amdhsa_user_sgpr_count 15
		.amdhsa_user_sgpr_dispatch_ptr 0
		.amdhsa_user_sgpr_queue_ptr 0
		.amdhsa_user_sgpr_kernarg_segment_ptr 1
		.amdhsa_user_sgpr_dispatch_id 0
		.amdhsa_user_sgpr_private_segment_size 0
		.amdhsa_wavefront_size32 1
		.amdhsa_uses_dynamic_stack 0
		.amdhsa_enable_private_segment 0
		.amdhsa_system_sgpr_workgroup_id_x 1
		.amdhsa_system_sgpr_workgroup_id_y 0
		.amdhsa_system_sgpr_workgroup_id_z 0
		.amdhsa_system_sgpr_workgroup_info 0
		.amdhsa_system_vgpr_workitem_id 0
		.amdhsa_next_free_vgpr 23
		.amdhsa_next_free_sgpr 32
		.amdhsa_reserve_vcc 1
		.amdhsa_float_round_mode_32 0
		.amdhsa_float_round_mode_16_64 0
		.amdhsa_float_denorm_mode_32 3
		.amdhsa_float_denorm_mode_16_64 3
		.amdhsa_dx10_clamp 1
		.amdhsa_ieee_mode 1
		.amdhsa_fp16_overflow 0
		.amdhsa_workgroup_processor_mode 1
		.amdhsa_memory_ordered 1
		.amdhsa_forward_progress 0
		.amdhsa_shared_vgpr_count 0
		.amdhsa_exception_fp_ieee_invalid_op 0
		.amdhsa_exception_fp_denorm_src 0
		.amdhsa_exception_fp_ieee_div_zero 0
		.amdhsa_exception_fp_ieee_overflow 0
		.amdhsa_exception_fp_ieee_underflow 0
		.amdhsa_exception_fp_ieee_inexact 0
		.amdhsa_exception_int_div_zero 0
	.end_amdhsa_kernel
	.section	.text._ZN2at6native31max_unpooling2d_backward_kernelIdEEvlPKT_PKllllllPS2_,"axG",@progbits,_ZN2at6native31max_unpooling2d_backward_kernelIdEEvlPKT_PKllllllPS2_,comdat
.Lfunc_end23:
	.size	_ZN2at6native31max_unpooling2d_backward_kernelIdEEvlPKT_PKllllllPS2_, .Lfunc_end23-_ZN2at6native31max_unpooling2d_backward_kernelIdEEvlPKT_PKllllllPS2_
                                        ; -- End function
	.section	.AMDGPU.csdata,"",@progbits
; Kernel info:
; codeLenInByte = 3380
; NumSgprs: 34
; NumVgprs: 23
; ScratchSize: 0
; MemoryBound: 0
; FloatMode: 240
; IeeeMode: 1
; LDSByteSize: 0 bytes/workgroup (compile time only)
; SGPRBlocks: 4
; VGPRBlocks: 2
; NumSGPRsForWavesPerEU: 34
; NumVGPRsForWavesPerEU: 23
; Occupancy: 16
; WaveLimiterHint : 1
; COMPUTE_PGM_RSRC2:SCRATCH_EN: 0
; COMPUTE_PGM_RSRC2:USER_SGPR: 15
; COMPUTE_PGM_RSRC2:TRAP_HANDLER: 0
; COMPUTE_PGM_RSRC2:TGID_X_EN: 1
; COMPUTE_PGM_RSRC2:TGID_Y_EN: 0
; COMPUTE_PGM_RSRC2:TGID_Z_EN: 0
; COMPUTE_PGM_RSRC2:TIDIG_COMP_CNT: 0
	.section	.text._ZN2at6native31max_unpooling2d_backward_kernelIfEEvlPKT_PKllllllPS2_,"axG",@progbits,_ZN2at6native31max_unpooling2d_backward_kernelIfEEvlPKT_PKllllllPS2_,comdat
	.protected	_ZN2at6native31max_unpooling2d_backward_kernelIfEEvlPKT_PKllllllPS2_ ; -- Begin function _ZN2at6native31max_unpooling2d_backward_kernelIfEEvlPKT_PKllllllPS2_
	.globl	_ZN2at6native31max_unpooling2d_backward_kernelIfEEvlPKT_PKllllllPS2_
	.p2align	8
	.type	_ZN2at6native31max_unpooling2d_backward_kernelIfEEvlPKT_PKllllllPS2_,@function
_ZN2at6native31max_unpooling2d_backward_kernelIfEEvlPKT_PKllllllPS2_: ; @_ZN2at6native31max_unpooling2d_backward_kernelIfEEvlPKT_PKllllllPS2_
; %bb.0:
	s_clause 0x1
	s_load_b32 s4, s[0:1], 0x54
	s_load_b512 s[16:31], s[0:1], 0x0
	v_mov_b32_e32 v2, 0
	s_add_u32 s2, s0, 0x48
	s_addc_u32 s3, s1, 0
	s_mov_b32 s5, exec_lo
	s_delay_alu instid0(VALU_DEP_1)
	v_mov_b32_e32 v1, v2
	s_waitcnt lgkmcnt(0)
	s_and_b32 s4, s4, 0xffff
	s_delay_alu instid0(VALU_DEP_1) | instid1(SALU_CYCLE_1)
	v_mad_u64_u32 v[4:5], null, s4, s15, v[0:1]
	s_delay_alu instid0(VALU_DEP_1)
	v_cmpx_gt_i64_e64 s[16:17], v[4:5]
	s_cbranch_execz .LBB24_15
; %bb.1:
	v_cvt_f32_u32_e32 v0, s26
	s_load_b32 s5, s[2:3], 0x0
	s_sub_i32 s2, 0, s26
	s_mul_hi_u32 s6, s30, s28
	s_mul_i32 s7, s31, s28
	v_rcp_iflag_f32_e32 v0, v0
	s_mov_b32 s12, 0
	s_waitcnt_depctr 0xfff
	v_dual_mov_b32 v3, v4 :: v_dual_mul_f32 v0, 0x4f7ffffe, v0
	s_delay_alu instid0(VALU_DEP_1)
	v_cvt_u32_f32_e32 v6, v0
	s_waitcnt lgkmcnt(0)
	s_mul_i32 s14, s5, s4
	s_ashr_i32 s4, s27, 31
	s_mov_b32 s15, s14
	v_mul_lo_u32 v0, s2, v6
	s_load_b64 s[2:3], s[0:1], 0x40
	s_mul_i32 s0, s30, s29
	s_mul_i32 s1, s30, s28
	s_add_i32 s0, s6, s0
	s_ashr_i32 s6, s25, 31
	s_add_i32 s13, s0, s7
	s_delay_alu instid0(VALU_DEP_1) | instskip(SKIP_1) | instid1(VALU_DEP_2)
	v_mul_hi_u32 v7, v6, v0
	v_dual_mov_b32 v0, s18 :: v_dual_mov_b32 v1, s19
	v_dual_mov_b32 v7, v3 :: v_dual_add_nc_u32 v14, v6, v7
	v_mov_b32_e32 v6, v2
	s_branch .LBB24_3
.LBB24_2:                               ;   in Loop: Header=BB24_3 Depth=1
	s_or_b32 exec_lo, exec_lo, s0
	v_lshlrev_b64 v[15:16], 3, v[8:9]
	s_delay_alu instid0(VALU_DEP_2)
	v_mul_lo_u32 v11, v12, s22
	v_ashrrev_i32_e32 v13, 31, v12
	v_mul_lo_u32 v17, v12, s23
	v_lshlrev_b64 v[8:9], 2, v[8:9]
	v_add_co_u32 v6, s0, v6, 0
	v_add_co_u32 v15, vcc_lo, s20, v15
	v_add_co_ci_u32_e32 v16, vcc_lo, s21, v16, vcc_lo
	v_sub_nc_u32_e32 v10, v10, v11
	v_mul_lo_u32 v13, v13, s22
	v_add_co_ci_u32_e64 v7, s0, s15, v7, s0
	global_load_b32 v3, v[15:16], off
	v_ashrrev_i32_e32 v11, 31, v10
	s_delay_alu instid0(VALU_DEP_1) | instskip(NEXT) | instid1(VALU_DEP_1)
	v_mad_u64_u32 v[15:16], null, v12, s22, v[10:11]
	v_add3_u32 v12, v13, v16, v17
	s_delay_alu instid0(VALU_DEP_2) | instskip(SKIP_1) | instid1(VALU_DEP_3)
	v_mul_lo_u32 v13, s13, v15
	v_mad_u64_u32 v[10:11], null, s1, v15, 0
	v_mul_lo_u32 v12, s1, v12
	s_delay_alu instid0(VALU_DEP_1) | instskip(NEXT) | instid1(VALU_DEP_1)
	v_add3_u32 v11, v11, v12, v13
	v_lshlrev_b64 v[10:11], 2, v[10:11]
	s_delay_alu instid0(VALU_DEP_1) | instskip(NEXT) | instid1(VALU_DEP_2)
	v_add_co_u32 v0, vcc_lo, v0, v10
	v_add_co_ci_u32_e32 v1, vcc_lo, v1, v11, vcc_lo
	s_waitcnt vmcnt(0)
	v_ashrrev_i64 v[12:13], 30, v[2:3]
	s_delay_alu instid0(VALU_DEP_1) | instskip(NEXT) | instid1(VALU_DEP_2)
	v_add_co_u32 v10, vcc_lo, v0, v12
	v_add_co_ci_u32_e32 v11, vcc_lo, v1, v13, vcc_lo
	v_add_co_u32 v4, vcc_lo, v4, s14
	v_add_co_ci_u32_e32 v5, vcc_lo, 0, v5, vcc_lo
	global_load_b32 v3, v[10:11], off
	s_waitcnt lgkmcnt(0)
	v_add_co_u32 v8, vcc_lo, s2, v8
	v_add_co_ci_u32_e32 v9, vcc_lo, s3, v9, vcc_lo
	v_cmp_le_i64_e32 vcc_lo, s[16:17], v[4:5]
	s_or_b32 s12, vcc_lo, s12
	s_waitcnt vmcnt(0)
	global_store_b32 v[8:9], v3, off
	s_and_not1_b32 exec_lo, exec_lo, s12
	s_cbranch_execz .LBB24_15
.LBB24_3:                               ; =>This Inner Loop Header: Depth=1
	s_delay_alu instid0(VALU_DEP_2) | instskip(SKIP_2) | instid1(VALU_DEP_2)
	v_ashrrev_i32_e32 v9, 31, v7
	v_mov_b32_e32 v8, v7
                                        ; implicit-def: $vgpr12_vgpr13
	s_mov_b32 s0, exec_lo
	v_or_b32_e32 v3, s27, v9
	s_delay_alu instid0(VALU_DEP_1)
	v_cmpx_ne_u64_e32 0, v[2:3]
	s_xor_b32 s7, exec_lo, s0
	s_cbranch_execz .LBB24_5
; %bb.4:                                ;   in Loop: Header=BB24_3 Depth=1
	s_add_u32 s8, s26, s4
	s_mov_b32 s5, s4
	s_addc_u32 s9, s27, s4
	s_delay_alu instid0(SALU_CYCLE_1) | instskip(NEXT) | instid1(SALU_CYCLE_1)
	s_xor_b64 s[8:9], s[8:9], s[4:5]
	v_cvt_f32_u32_e32 v3, s8
	v_cvt_f32_u32_e32 v10, s9
	s_sub_u32 s0, 0, s8
	s_subb_u32 s5, 0, s9
	s_delay_alu instid0(VALU_DEP_1) | instskip(NEXT) | instid1(VALU_DEP_1)
	v_fmac_f32_e32 v3, 0x4f800000, v10
	v_rcp_f32_e32 v3, v3
	s_waitcnt_depctr 0xfff
	v_mul_f32_e32 v3, 0x5f7ffffc, v3
	s_delay_alu instid0(VALU_DEP_1) | instskip(NEXT) | instid1(VALU_DEP_1)
	v_mul_f32_e32 v10, 0x2f800000, v3
	v_trunc_f32_e32 v10, v10
	s_delay_alu instid0(VALU_DEP_1) | instskip(SKIP_1) | instid1(VALU_DEP_2)
	v_fmac_f32_e32 v3, 0xcf800000, v10
	v_cvt_u32_f32_e32 v10, v10
	v_cvt_u32_f32_e32 v3, v3
	s_delay_alu instid0(VALU_DEP_2) | instskip(NEXT) | instid1(VALU_DEP_2)
	v_mul_lo_u32 v11, s0, v10
	v_mul_hi_u32 v12, s0, v3
	v_mul_lo_u32 v13, s5, v3
	s_delay_alu instid0(VALU_DEP_2) | instskip(SKIP_1) | instid1(VALU_DEP_2)
	v_add_nc_u32_e32 v11, v12, v11
	v_mul_lo_u32 v12, s0, v3
	v_add_nc_u32_e32 v11, v11, v13
	s_delay_alu instid0(VALU_DEP_2) | instskip(NEXT) | instid1(VALU_DEP_2)
	v_mul_hi_u32 v13, v3, v12
	v_mul_lo_u32 v15, v3, v11
	v_mul_hi_u32 v16, v3, v11
	v_mul_hi_u32 v17, v10, v12
	v_mul_lo_u32 v12, v10, v12
	v_mul_hi_u32 v18, v10, v11
	v_mul_lo_u32 v11, v10, v11
	v_add_co_u32 v13, vcc_lo, v13, v15
	v_add_co_ci_u32_e32 v15, vcc_lo, 0, v16, vcc_lo
	s_delay_alu instid0(VALU_DEP_2) | instskip(NEXT) | instid1(VALU_DEP_2)
	v_add_co_u32 v12, vcc_lo, v13, v12
	v_add_co_ci_u32_e32 v12, vcc_lo, v15, v17, vcc_lo
	v_add_co_ci_u32_e32 v13, vcc_lo, 0, v18, vcc_lo
	v_ashrrev_i32_e32 v17, 31, v9
	s_delay_alu instid0(VALU_DEP_3) | instskip(NEXT) | instid1(VALU_DEP_3)
	v_add_co_u32 v11, vcc_lo, v12, v11
	v_add_co_ci_u32_e32 v12, vcc_lo, 0, v13, vcc_lo
	s_delay_alu instid0(VALU_DEP_2) | instskip(NEXT) | instid1(VALU_DEP_2)
	v_add_co_u32 v3, vcc_lo, v3, v11
	v_add_co_ci_u32_e32 v10, vcc_lo, v10, v12, vcc_lo
	s_delay_alu instid0(VALU_DEP_2) | instskip(SKIP_1) | instid1(VALU_DEP_3)
	v_mul_hi_u32 v11, s0, v3
	v_mul_lo_u32 v13, s5, v3
	v_mul_lo_u32 v12, s0, v10
	s_delay_alu instid0(VALU_DEP_1) | instskip(SKIP_1) | instid1(VALU_DEP_2)
	v_add_nc_u32_e32 v11, v11, v12
	v_mul_lo_u32 v12, s0, v3
	v_add_nc_u32_e32 v11, v11, v13
	s_delay_alu instid0(VALU_DEP_2) | instskip(NEXT) | instid1(VALU_DEP_2)
	v_mul_hi_u32 v13, v3, v12
	v_mul_lo_u32 v15, v3, v11
	v_mul_hi_u32 v16, v3, v11
	v_mul_hi_u32 v18, v10, v12
	v_mul_lo_u32 v12, v10, v12
	v_mul_hi_u32 v19, v10, v11
	v_mul_lo_u32 v11, v10, v11
	v_add_co_u32 v13, vcc_lo, v13, v15
	v_add_co_ci_u32_e32 v15, vcc_lo, 0, v16, vcc_lo
	s_delay_alu instid0(VALU_DEP_2) | instskip(NEXT) | instid1(VALU_DEP_2)
	v_add_co_u32 v12, vcc_lo, v13, v12
	v_add_co_ci_u32_e32 v12, vcc_lo, v15, v18, vcc_lo
	v_add_co_ci_u32_e32 v13, vcc_lo, 0, v19, vcc_lo
	v_add_co_u32 v15, vcc_lo, v8, v17
	v_add_co_ci_u32_e32 v16, vcc_lo, v9, v17, vcc_lo
	s_delay_alu instid0(VALU_DEP_4) | instskip(NEXT) | instid1(VALU_DEP_4)
	v_add_co_u32 v11, vcc_lo, v12, v11
	v_add_co_ci_u32_e32 v12, vcc_lo, 0, v13, vcc_lo
	s_delay_alu instid0(VALU_DEP_4) | instskip(NEXT) | instid1(VALU_DEP_3)
	v_xor_b32_e32 v18, v15, v17
	v_add_co_u32 v3, vcc_lo, v3, v11
	s_delay_alu instid0(VALU_DEP_3) | instskip(SKIP_1) | instid1(VALU_DEP_3)
	v_add_co_ci_u32_e32 v19, vcc_lo, v10, v12, vcc_lo
	v_xor_b32_e32 v20, v16, v17
	v_mul_hi_u32 v21, v18, v3
	s_delay_alu instid0(VALU_DEP_3) | instskip(NEXT) | instid1(VALU_DEP_3)
	v_mad_u64_u32 v[10:11], null, v18, v19, 0
	v_mad_u64_u32 v[12:13], null, v20, v3, 0
	;; [unrolled: 1-line block ×3, first 2 shown]
	s_delay_alu instid0(VALU_DEP_3) | instskip(NEXT) | instid1(VALU_DEP_4)
	v_add_co_u32 v3, vcc_lo, v21, v10
	v_add_co_ci_u32_e32 v10, vcc_lo, 0, v11, vcc_lo
	s_delay_alu instid0(VALU_DEP_2) | instskip(NEXT) | instid1(VALU_DEP_2)
	v_add_co_u32 v3, vcc_lo, v3, v12
	v_add_co_ci_u32_e32 v3, vcc_lo, v10, v13, vcc_lo
	v_add_co_ci_u32_e32 v10, vcc_lo, 0, v16, vcc_lo
	s_delay_alu instid0(VALU_DEP_2) | instskip(NEXT) | instid1(VALU_DEP_2)
	v_add_co_u32 v3, vcc_lo, v3, v15
	v_add_co_ci_u32_e32 v12, vcc_lo, 0, v10, vcc_lo
	s_delay_alu instid0(VALU_DEP_2) | instskip(SKIP_1) | instid1(VALU_DEP_3)
	v_mul_lo_u32 v13, s9, v3
	v_mad_u64_u32 v[10:11], null, s8, v3, 0
	v_mul_lo_u32 v15, s8, v12
	s_delay_alu instid0(VALU_DEP_2) | instskip(NEXT) | instid1(VALU_DEP_2)
	v_sub_co_u32 v10, vcc_lo, v18, v10
	v_add3_u32 v11, v11, v15, v13
	s_delay_alu instid0(VALU_DEP_1) | instskip(NEXT) | instid1(VALU_DEP_1)
	v_sub_nc_u32_e32 v13, v20, v11
	v_subrev_co_ci_u32_e64 v13, s0, s9, v13, vcc_lo
	v_add_co_u32 v15, s0, v3, 2
	s_delay_alu instid0(VALU_DEP_1) | instskip(SKIP_3) | instid1(VALU_DEP_3)
	v_add_co_ci_u32_e64 v16, s0, 0, v12, s0
	v_sub_co_u32 v18, s0, v10, s8
	v_sub_co_ci_u32_e32 v11, vcc_lo, v20, v11, vcc_lo
	v_subrev_co_ci_u32_e64 v13, s0, 0, v13, s0
	v_cmp_le_u32_e32 vcc_lo, s8, v18
	s_delay_alu instid0(VALU_DEP_3) | instskip(SKIP_1) | instid1(VALU_DEP_4)
	v_cmp_eq_u32_e64 s0, s9, v11
	v_cndmask_b32_e64 v18, 0, -1, vcc_lo
	v_cmp_le_u32_e32 vcc_lo, s9, v13
	v_cndmask_b32_e64 v19, 0, -1, vcc_lo
	v_cmp_le_u32_e32 vcc_lo, s8, v10
	;; [unrolled: 2-line block ×3, first 2 shown]
	v_cndmask_b32_e64 v20, 0, -1, vcc_lo
	v_cmp_eq_u32_e32 vcc_lo, s9, v13
	s_delay_alu instid0(VALU_DEP_2) | instskip(SKIP_3) | instid1(VALU_DEP_3)
	v_cndmask_b32_e64 v10, v20, v10, s0
	v_cndmask_b32_e32 v13, v19, v18, vcc_lo
	v_add_co_u32 v18, vcc_lo, v3, 1
	v_add_co_ci_u32_e32 v19, vcc_lo, 0, v12, vcc_lo
	v_cmp_ne_u32_e32 vcc_lo, 0, v13
	s_delay_alu instid0(VALU_DEP_2) | instskip(NEXT) | instid1(VALU_DEP_4)
	v_cndmask_b32_e32 v11, v19, v16, vcc_lo
	v_cndmask_b32_e32 v13, v18, v15, vcc_lo
	v_cmp_ne_u32_e32 vcc_lo, 0, v10
	v_xor_b32_e32 v10, s4, v17
	s_delay_alu instid0(VALU_DEP_3) | instskip(SKIP_1) | instid1(VALU_DEP_2)
	v_cndmask_b32_e32 v3, v3, v13, vcc_lo
	v_cndmask_b32_e32 v11, v12, v11, vcc_lo
	v_xor_b32_e32 v3, v3, v10
	s_delay_alu instid0(VALU_DEP_2) | instskip(NEXT) | instid1(VALU_DEP_2)
	v_xor_b32_e32 v11, v11, v10
	v_sub_co_u32 v12, vcc_lo, v3, v10
	s_delay_alu instid0(VALU_DEP_2)
	v_sub_co_ci_u32_e32 v13, vcc_lo, v11, v10, vcc_lo
.LBB24_5:                               ;   in Loop: Header=BB24_3 Depth=1
	s_and_not1_saveexec_b32 s0, s7
; %bb.6:                                ;   in Loop: Header=BB24_3 Depth=1
	v_mul_hi_u32 v3, v7, v14
	v_mov_b32_e32 v13, v2
	s_delay_alu instid0(VALU_DEP_2) | instskip(NEXT) | instid1(VALU_DEP_1)
	v_mul_lo_u32 v10, v3, s26
	v_sub_nc_u32_e32 v10, v7, v10
	s_delay_alu instid0(VALU_DEP_1) | instskip(SKIP_1) | instid1(VALU_DEP_2)
	v_subrev_nc_u32_e32 v12, s26, v10
	v_cmp_le_u32_e32 vcc_lo, s26, v10
	v_dual_cndmask_b32 v10, v10, v12 :: v_dual_add_nc_u32 v11, 1, v3
	s_delay_alu instid0(VALU_DEP_1) | instskip(NEXT) | instid1(VALU_DEP_2)
	v_cndmask_b32_e32 v3, v3, v11, vcc_lo
	v_cmp_le_u32_e32 vcc_lo, s26, v10
	s_delay_alu instid0(VALU_DEP_2) | instskip(NEXT) | instid1(VALU_DEP_1)
	v_add_nc_u32_e32 v11, 1, v3
	v_cndmask_b32_e32 v12, v3, v11, vcc_lo
; %bb.7:                                ;   in Loop: Header=BB24_3 Depth=1
	s_or_b32 exec_lo, exec_lo, s0
	v_or_b32_e32 v3, s25, v13
                                        ; implicit-def: $vgpr10_vgpr11
	s_mov_b32 s0, exec_lo
	s_delay_alu instid0(VALU_DEP_1)
	v_cmpx_ne_u64_e32 0, v[2:3]
	s_xor_b32 s5, exec_lo, s0
	s_cbranch_execz .LBB24_9
; %bb.8:                                ;   in Loop: Header=BB24_3 Depth=1
	s_add_u32 s8, s24, s6
	s_mov_b32 s7, s6
	s_addc_u32 s9, s25, s6
	s_delay_alu instid0(SALU_CYCLE_1) | instskip(NEXT) | instid1(SALU_CYCLE_1)
	s_xor_b64 s[8:9], s[8:9], s[6:7]
	v_cvt_f32_u32_e32 v3, s8
	v_cvt_f32_u32_e32 v10, s9
	s_sub_u32 s0, 0, s8
	s_subb_u32 s7, 0, s9
	s_delay_alu instid0(VALU_DEP_1) | instskip(NEXT) | instid1(VALU_DEP_1)
	v_fmac_f32_e32 v3, 0x4f800000, v10
	v_rcp_f32_e32 v3, v3
	s_waitcnt_depctr 0xfff
	v_mul_f32_e32 v3, 0x5f7ffffc, v3
	s_delay_alu instid0(VALU_DEP_1) | instskip(NEXT) | instid1(VALU_DEP_1)
	v_mul_f32_e32 v10, 0x2f800000, v3
	v_trunc_f32_e32 v10, v10
	s_delay_alu instid0(VALU_DEP_1) | instskip(SKIP_1) | instid1(VALU_DEP_2)
	v_fmac_f32_e32 v3, 0xcf800000, v10
	v_cvt_u32_f32_e32 v10, v10
	v_cvt_u32_f32_e32 v3, v3
	s_delay_alu instid0(VALU_DEP_2) | instskip(NEXT) | instid1(VALU_DEP_2)
	v_mul_lo_u32 v11, s0, v10
	v_mul_hi_u32 v15, s0, v3
	v_mul_lo_u32 v16, s7, v3
	s_delay_alu instid0(VALU_DEP_2) | instskip(SKIP_1) | instid1(VALU_DEP_2)
	v_add_nc_u32_e32 v11, v15, v11
	v_mul_lo_u32 v15, s0, v3
	v_add_nc_u32_e32 v11, v11, v16
	s_delay_alu instid0(VALU_DEP_2) | instskip(NEXT) | instid1(VALU_DEP_2)
	v_mul_hi_u32 v16, v3, v15
	v_mul_lo_u32 v17, v3, v11
	v_mul_hi_u32 v18, v3, v11
	v_mul_hi_u32 v19, v10, v15
	v_mul_lo_u32 v15, v10, v15
	v_mul_hi_u32 v20, v10, v11
	v_mul_lo_u32 v11, v10, v11
	v_add_co_u32 v16, vcc_lo, v16, v17
	v_add_co_ci_u32_e32 v17, vcc_lo, 0, v18, vcc_lo
	s_delay_alu instid0(VALU_DEP_2) | instskip(NEXT) | instid1(VALU_DEP_2)
	v_add_co_u32 v15, vcc_lo, v16, v15
	v_add_co_ci_u32_e32 v15, vcc_lo, v17, v19, vcc_lo
	v_add_co_ci_u32_e32 v16, vcc_lo, 0, v20, vcc_lo
	v_ashrrev_i32_e32 v19, 31, v13
	s_delay_alu instid0(VALU_DEP_3) | instskip(NEXT) | instid1(VALU_DEP_3)
	v_add_co_u32 v11, vcc_lo, v15, v11
	v_add_co_ci_u32_e32 v15, vcc_lo, 0, v16, vcc_lo
	s_delay_alu instid0(VALU_DEP_2) | instskip(NEXT) | instid1(VALU_DEP_2)
	v_add_co_u32 v3, vcc_lo, v3, v11
	v_add_co_ci_u32_e32 v10, vcc_lo, v10, v15, vcc_lo
	s_delay_alu instid0(VALU_DEP_2) | instskip(SKIP_1) | instid1(VALU_DEP_3)
	v_mul_hi_u32 v11, s0, v3
	v_mul_lo_u32 v16, s7, v3
	v_mul_lo_u32 v15, s0, v10
	s_delay_alu instid0(VALU_DEP_1) | instskip(SKIP_1) | instid1(VALU_DEP_2)
	v_add_nc_u32_e32 v11, v11, v15
	v_mul_lo_u32 v15, s0, v3
	v_add_nc_u32_e32 v11, v11, v16
	s_delay_alu instid0(VALU_DEP_2) | instskip(NEXT) | instid1(VALU_DEP_2)
	v_mul_hi_u32 v16, v3, v15
	v_mul_lo_u32 v17, v3, v11
	v_mul_hi_u32 v18, v3, v11
	v_mul_hi_u32 v20, v10, v15
	v_mul_lo_u32 v15, v10, v15
	v_mul_hi_u32 v21, v10, v11
	v_mul_lo_u32 v11, v10, v11
	v_add_co_u32 v16, vcc_lo, v16, v17
	v_add_co_ci_u32_e32 v17, vcc_lo, 0, v18, vcc_lo
	s_delay_alu instid0(VALU_DEP_2) | instskip(NEXT) | instid1(VALU_DEP_2)
	v_add_co_u32 v15, vcc_lo, v16, v15
	v_add_co_ci_u32_e32 v15, vcc_lo, v17, v20, vcc_lo
	v_add_co_ci_u32_e32 v16, vcc_lo, 0, v21, vcc_lo
	v_add_co_u32 v12, vcc_lo, v12, v19
	v_add_co_ci_u32_e32 v13, vcc_lo, v13, v19, vcc_lo
	s_delay_alu instid0(VALU_DEP_4) | instskip(NEXT) | instid1(VALU_DEP_4)
	v_add_co_u32 v11, vcc_lo, v15, v11
	v_add_co_ci_u32_e32 v15, vcc_lo, 0, v16, vcc_lo
	s_delay_alu instid0(VALU_DEP_4) | instskip(NEXT) | instid1(VALU_DEP_3)
	v_xor_b32_e32 v17, v12, v19
	v_add_co_u32 v3, vcc_lo, v3, v11
	s_delay_alu instid0(VALU_DEP_3) | instskip(SKIP_1) | instid1(VALU_DEP_3)
	v_add_co_ci_u32_e32 v18, vcc_lo, v10, v15, vcc_lo
	v_xor_b32_e32 v20, v13, v19
	v_mul_hi_u32 v21, v17, v3
	s_delay_alu instid0(VALU_DEP_3) | instskip(NEXT) | instid1(VALU_DEP_3)
	v_mad_u64_u32 v[10:11], null, v17, v18, 0
	v_mad_u64_u32 v[12:13], null, v20, v3, 0
	;; [unrolled: 1-line block ×3, first 2 shown]
	s_delay_alu instid0(VALU_DEP_3) | instskip(NEXT) | instid1(VALU_DEP_4)
	v_add_co_u32 v3, vcc_lo, v21, v10
	v_add_co_ci_u32_e32 v10, vcc_lo, 0, v11, vcc_lo
	s_delay_alu instid0(VALU_DEP_2) | instskip(NEXT) | instid1(VALU_DEP_2)
	v_add_co_u32 v3, vcc_lo, v3, v12
	v_add_co_ci_u32_e32 v3, vcc_lo, v10, v13, vcc_lo
	v_add_co_ci_u32_e32 v10, vcc_lo, 0, v16, vcc_lo
	s_delay_alu instid0(VALU_DEP_2) | instskip(NEXT) | instid1(VALU_DEP_2)
	v_add_co_u32 v3, vcc_lo, v3, v15
	v_add_co_ci_u32_e32 v12, vcc_lo, 0, v10, vcc_lo
	s_delay_alu instid0(VALU_DEP_2) | instskip(SKIP_1) | instid1(VALU_DEP_3)
	v_mul_lo_u32 v13, s9, v3
	v_mad_u64_u32 v[10:11], null, s8, v3, 0
	v_mul_lo_u32 v15, s8, v12
	s_delay_alu instid0(VALU_DEP_2) | instskip(NEXT) | instid1(VALU_DEP_2)
	v_sub_co_u32 v10, vcc_lo, v17, v10
	v_add3_u32 v11, v11, v15, v13
	s_delay_alu instid0(VALU_DEP_1) | instskip(NEXT) | instid1(VALU_DEP_1)
	v_sub_nc_u32_e32 v13, v20, v11
	v_subrev_co_ci_u32_e64 v13, s0, s9, v13, vcc_lo
	v_add_co_u32 v15, s0, v3, 2
	s_delay_alu instid0(VALU_DEP_1) | instskip(SKIP_3) | instid1(VALU_DEP_3)
	v_add_co_ci_u32_e64 v16, s0, 0, v12, s0
	v_sub_co_u32 v17, s0, v10, s8
	v_sub_co_ci_u32_e32 v11, vcc_lo, v20, v11, vcc_lo
	v_subrev_co_ci_u32_e64 v13, s0, 0, v13, s0
	v_cmp_le_u32_e32 vcc_lo, s8, v17
	s_delay_alu instid0(VALU_DEP_3) | instskip(SKIP_1) | instid1(VALU_DEP_4)
	v_cmp_eq_u32_e64 s0, s9, v11
	v_cndmask_b32_e64 v17, 0, -1, vcc_lo
	v_cmp_le_u32_e32 vcc_lo, s9, v13
	v_cndmask_b32_e64 v18, 0, -1, vcc_lo
	v_cmp_le_u32_e32 vcc_lo, s8, v10
	;; [unrolled: 2-line block ×3, first 2 shown]
	v_cndmask_b32_e64 v20, 0, -1, vcc_lo
	v_cmp_eq_u32_e32 vcc_lo, s9, v13
	s_delay_alu instid0(VALU_DEP_2) | instskip(SKIP_3) | instid1(VALU_DEP_3)
	v_cndmask_b32_e64 v10, v20, v10, s0
	v_cndmask_b32_e32 v13, v18, v17, vcc_lo
	v_add_co_u32 v17, vcc_lo, v3, 1
	v_add_co_ci_u32_e32 v18, vcc_lo, 0, v12, vcc_lo
	v_cmp_ne_u32_e32 vcc_lo, 0, v13
	s_delay_alu instid0(VALU_DEP_2) | instskip(NEXT) | instid1(VALU_DEP_4)
	v_cndmask_b32_e32 v11, v18, v16, vcc_lo
	v_cndmask_b32_e32 v13, v17, v15, vcc_lo
	v_cmp_ne_u32_e32 vcc_lo, 0, v10
	v_xor_b32_e32 v15, s6, v19
	s_delay_alu instid0(VALU_DEP_3) | instskip(NEXT) | instid1(VALU_DEP_1)
	v_dual_cndmask_b32 v3, v3, v13 :: v_dual_cndmask_b32 v10, v12, v11
                                        ; implicit-def: $vgpr12_vgpr13
	v_xor_b32_e32 v3, v3, v15
	s_delay_alu instid0(VALU_DEP_2) | instskip(NEXT) | instid1(VALU_DEP_2)
	v_xor_b32_e32 v11, v10, v15
	v_sub_co_u32 v10, vcc_lo, v3, v15
	s_delay_alu instid0(VALU_DEP_2)
	v_sub_co_ci_u32_e32 v11, vcc_lo, v11, v15, vcc_lo
.LBB24_9:                               ;   in Loop: Header=BB24_3 Depth=1
	s_and_not1_saveexec_b32 s0, s5
	s_cbranch_execz .LBB24_11
; %bb.10:                               ;   in Loop: Header=BB24_3 Depth=1
	v_cvt_f32_u32_e32 v3, s24
	s_sub_i32 s5, 0, s24
	s_delay_alu instid0(VALU_DEP_1) | instskip(SKIP_2) | instid1(VALU_DEP_1)
	v_rcp_iflag_f32_e32 v3, v3
	s_waitcnt_depctr 0xfff
	v_mul_f32_e32 v3, 0x4f7ffffe, v3
	v_cvt_u32_f32_e32 v3, v3
	s_delay_alu instid0(VALU_DEP_1) | instskip(NEXT) | instid1(VALU_DEP_1)
	v_mul_lo_u32 v10, s5, v3
	v_mul_hi_u32 v10, v3, v10
	s_delay_alu instid0(VALU_DEP_1) | instskip(NEXT) | instid1(VALU_DEP_1)
	v_add_nc_u32_e32 v3, v3, v10
	v_mul_hi_u32 v3, v12, v3
	s_delay_alu instid0(VALU_DEP_1) | instskip(SKIP_1) | instid1(VALU_DEP_2)
	v_mul_lo_u32 v10, v3, s24
	v_add_nc_u32_e32 v11, 1, v3
	v_sub_nc_u32_e32 v10, v12, v10
	s_delay_alu instid0(VALU_DEP_1) | instskip(SKIP_1) | instid1(VALU_DEP_2)
	v_subrev_nc_u32_e32 v12, s24, v10
	v_cmp_le_u32_e32 vcc_lo, s24, v10
	v_dual_cndmask_b32 v10, v10, v12 :: v_dual_cndmask_b32 v3, v3, v11
	s_delay_alu instid0(VALU_DEP_1) | instskip(NEXT) | instid1(VALU_DEP_2)
	v_cmp_le_u32_e32 vcc_lo, s24, v10
	v_add_nc_u32_e32 v11, 1, v3
	s_delay_alu instid0(VALU_DEP_1)
	v_dual_cndmask_b32 v10, v3, v11 :: v_dual_mov_b32 v11, v2
.LBB24_11:                              ;   in Loop: Header=BB24_3 Depth=1
	s_or_b32 exec_lo, exec_lo, s0
	s_delay_alu instid0(VALU_DEP_1) | instskip(SKIP_1) | instid1(VALU_DEP_1)
	v_or_b32_e32 v3, s23, v11
                                        ; implicit-def: $vgpr12_vgpr13
	s_mov_b32 s0, exec_lo
	v_cmpx_ne_u64_e32 0, v[2:3]
	s_xor_b32 s5, exec_lo, s0
	s_cbranch_execz .LBB24_13
; %bb.12:                               ;   in Loop: Header=BB24_3 Depth=1
	s_ashr_i32 s8, s23, 31
	s_delay_alu instid0(SALU_CYCLE_1) | instskip(SKIP_2) | instid1(SALU_CYCLE_1)
	s_add_u32 s10, s22, s8
	s_mov_b32 s9, s8
	s_addc_u32 s11, s23, s8
	s_xor_b64 s[10:11], s[10:11], s[8:9]
	s_delay_alu instid0(SALU_CYCLE_1) | instskip(SKIP_3) | instid1(VALU_DEP_1)
	v_cvt_f32_u32_e32 v3, s10
	v_cvt_f32_u32_e32 v12, s11
	s_sub_u32 s0, 0, s10
	s_subb_u32 s7, 0, s11
	v_fmac_f32_e32 v3, 0x4f800000, v12
	s_delay_alu instid0(VALU_DEP_1) | instskip(SKIP_2) | instid1(VALU_DEP_1)
	v_rcp_f32_e32 v3, v3
	s_waitcnt_depctr 0xfff
	v_mul_f32_e32 v3, 0x5f7ffffc, v3
	v_mul_f32_e32 v12, 0x2f800000, v3
	s_delay_alu instid0(VALU_DEP_1) | instskip(NEXT) | instid1(VALU_DEP_1)
	v_trunc_f32_e32 v12, v12
	v_fmac_f32_e32 v3, 0xcf800000, v12
	v_cvt_u32_f32_e32 v12, v12
	s_delay_alu instid0(VALU_DEP_2) | instskip(NEXT) | instid1(VALU_DEP_2)
	v_cvt_u32_f32_e32 v3, v3
	v_mul_lo_u32 v13, s0, v12
	s_delay_alu instid0(VALU_DEP_2) | instskip(SKIP_1) | instid1(VALU_DEP_2)
	v_mul_hi_u32 v15, s0, v3
	v_mul_lo_u32 v16, s7, v3
	v_add_nc_u32_e32 v13, v15, v13
	v_mul_lo_u32 v15, s0, v3
	s_delay_alu instid0(VALU_DEP_2) | instskip(NEXT) | instid1(VALU_DEP_2)
	v_add_nc_u32_e32 v13, v13, v16
	v_mul_hi_u32 v16, v3, v15
	s_delay_alu instid0(VALU_DEP_2)
	v_mul_lo_u32 v17, v3, v13
	v_mul_hi_u32 v18, v3, v13
	v_mul_hi_u32 v19, v12, v15
	v_mul_lo_u32 v15, v12, v15
	v_mul_hi_u32 v20, v12, v13
	v_mul_lo_u32 v13, v12, v13
	v_add_co_u32 v16, vcc_lo, v16, v17
	v_add_co_ci_u32_e32 v17, vcc_lo, 0, v18, vcc_lo
	s_delay_alu instid0(VALU_DEP_2) | instskip(NEXT) | instid1(VALU_DEP_2)
	v_add_co_u32 v15, vcc_lo, v16, v15
	v_add_co_ci_u32_e32 v15, vcc_lo, v17, v19, vcc_lo
	v_add_co_ci_u32_e32 v16, vcc_lo, 0, v20, vcc_lo
	v_ashrrev_i32_e32 v19, 31, v11
	s_delay_alu instid0(VALU_DEP_3) | instskip(NEXT) | instid1(VALU_DEP_3)
	v_add_co_u32 v13, vcc_lo, v15, v13
	v_add_co_ci_u32_e32 v15, vcc_lo, 0, v16, vcc_lo
	s_delay_alu instid0(VALU_DEP_2) | instskip(NEXT) | instid1(VALU_DEP_2)
	v_add_co_u32 v3, vcc_lo, v3, v13
	v_add_co_ci_u32_e32 v12, vcc_lo, v12, v15, vcc_lo
	s_delay_alu instid0(VALU_DEP_2) | instskip(SKIP_1) | instid1(VALU_DEP_3)
	v_mul_hi_u32 v13, s0, v3
	v_mul_lo_u32 v16, s7, v3
	v_mul_lo_u32 v15, s0, v12
	s_delay_alu instid0(VALU_DEP_1) | instskip(SKIP_1) | instid1(VALU_DEP_2)
	v_add_nc_u32_e32 v13, v13, v15
	v_mul_lo_u32 v15, s0, v3
	v_add_nc_u32_e32 v13, v13, v16
	s_delay_alu instid0(VALU_DEP_2) | instskip(NEXT) | instid1(VALU_DEP_2)
	v_mul_hi_u32 v16, v3, v15
	v_mul_lo_u32 v17, v3, v13
	v_mul_hi_u32 v18, v3, v13
	v_mul_hi_u32 v20, v12, v15
	v_mul_lo_u32 v15, v12, v15
	v_mul_hi_u32 v21, v12, v13
	v_mul_lo_u32 v13, v12, v13
	v_add_co_u32 v16, vcc_lo, v16, v17
	v_add_co_ci_u32_e32 v17, vcc_lo, 0, v18, vcc_lo
	s_delay_alu instid0(VALU_DEP_2) | instskip(NEXT) | instid1(VALU_DEP_2)
	v_add_co_u32 v15, vcc_lo, v16, v15
	v_add_co_ci_u32_e32 v15, vcc_lo, v17, v20, vcc_lo
	v_add_co_ci_u32_e32 v16, vcc_lo, 0, v21, vcc_lo
	v_add_co_u32 v17, vcc_lo, v10, v19
	v_add_co_ci_u32_e32 v11, vcc_lo, v11, v19, vcc_lo
	s_delay_alu instid0(VALU_DEP_4) | instskip(NEXT) | instid1(VALU_DEP_4)
	v_add_co_u32 v13, vcc_lo, v15, v13
	v_add_co_ci_u32_e32 v15, vcc_lo, 0, v16, vcc_lo
	s_delay_alu instid0(VALU_DEP_4) | instskip(NEXT) | instid1(VALU_DEP_3)
	v_xor_b32_e32 v20, v17, v19
	v_add_co_u32 v3, vcc_lo, v3, v13
	s_delay_alu instid0(VALU_DEP_3) | instskip(SKIP_1) | instid1(VALU_DEP_3)
	v_add_co_ci_u32_e32 v13, vcc_lo, v12, v15, vcc_lo
	v_xor_b32_e32 v21, v11, v19
	v_mul_hi_u32 v22, v20, v3
	s_delay_alu instid0(VALU_DEP_3) | instskip(NEXT) | instid1(VALU_DEP_3)
	v_mad_u64_u32 v[11:12], null, v20, v13, 0
	v_mad_u64_u32 v[15:16], null, v21, v3, 0
	;; [unrolled: 1-line block ×3, first 2 shown]
	s_delay_alu instid0(VALU_DEP_3) | instskip(NEXT) | instid1(VALU_DEP_4)
	v_add_co_u32 v3, vcc_lo, v22, v11
	v_add_co_ci_u32_e32 v11, vcc_lo, 0, v12, vcc_lo
	s_delay_alu instid0(VALU_DEP_2) | instskip(NEXT) | instid1(VALU_DEP_2)
	v_add_co_u32 v3, vcc_lo, v3, v15
	v_add_co_ci_u32_e32 v3, vcc_lo, v11, v16, vcc_lo
	v_add_co_ci_u32_e32 v11, vcc_lo, 0, v18, vcc_lo
	s_delay_alu instid0(VALU_DEP_2) | instskip(NEXT) | instid1(VALU_DEP_2)
	v_add_co_u32 v3, vcc_lo, v3, v17
	v_add_co_ci_u32_e32 v13, vcc_lo, 0, v11, vcc_lo
	s_delay_alu instid0(VALU_DEP_2) | instskip(SKIP_1) | instid1(VALU_DEP_3)
	v_mul_lo_u32 v15, s11, v3
	v_mad_u64_u32 v[11:12], null, s10, v3, 0
	v_mul_lo_u32 v13, s10, v13
	s_delay_alu instid0(VALU_DEP_2) | instskip(NEXT) | instid1(VALU_DEP_2)
	v_sub_co_u32 v11, vcc_lo, v20, v11
	v_add3_u32 v12, v12, v13, v15
	v_add_co_u32 v15, s0, v3, 2
	s_delay_alu instid0(VALU_DEP_2) | instskip(NEXT) | instid1(VALU_DEP_1)
	v_sub_nc_u32_e32 v13, v21, v12
	v_subrev_co_ci_u32_e64 v13, s0, s11, v13, vcc_lo
	v_sub_co_u32 v16, s0, v11, s10
	v_sub_co_ci_u32_e32 v12, vcc_lo, v21, v12, vcc_lo
	s_delay_alu instid0(VALU_DEP_3) | instskip(NEXT) | instid1(VALU_DEP_3)
	v_subrev_co_ci_u32_e64 v13, s0, 0, v13, s0
	v_cmp_le_u32_e32 vcc_lo, s10, v16
	v_cndmask_b32_e64 v16, 0, -1, vcc_lo
	s_delay_alu instid0(VALU_DEP_3)
	v_cmp_le_u32_e32 vcc_lo, s11, v13
	v_cndmask_b32_e64 v17, 0, -1, vcc_lo
	v_cmp_le_u32_e32 vcc_lo, s10, v11
	v_cndmask_b32_e64 v11, 0, -1, vcc_lo
	;; [unrolled: 2-line block ×3, first 2 shown]
	v_cmp_eq_u32_e32 vcc_lo, s11, v13
	v_cndmask_b32_e32 v13, v17, v16, vcc_lo
	v_add_co_u32 v16, vcc_lo, v3, 1
	v_cmp_eq_u32_e32 vcc_lo, s11, v12
	v_cndmask_b32_e32 v11, v18, v11, vcc_lo
	s_delay_alu instid0(VALU_DEP_4) | instskip(NEXT) | instid1(VALU_DEP_4)
	v_cmp_ne_u32_e32 vcc_lo, 0, v13
	v_cndmask_b32_e32 v12, v16, v15, vcc_lo
	s_delay_alu instid0(VALU_DEP_3) | instskip(SKIP_1) | instid1(VALU_DEP_3)
	v_cmp_ne_u32_e32 vcc_lo, 0, v11
	v_xor_b32_e32 v11, s8, v19
	v_cndmask_b32_e32 v3, v3, v12, vcc_lo
	s_delay_alu instid0(VALU_DEP_1) | instskip(NEXT) | instid1(VALU_DEP_1)
	v_xor_b32_e32 v3, v3, v11
	v_sub_co_u32 v12, vcc_lo, v3, v11
.LBB24_13:                              ;   in Loop: Header=BB24_3 Depth=1
	s_and_not1_saveexec_b32 s0, s5
	s_cbranch_execz .LBB24_2
; %bb.14:                               ;   in Loop: Header=BB24_3 Depth=1
	v_cvt_f32_u32_e32 v3, s22
	s_sub_i32 s5, 0, s22
	s_delay_alu instid0(VALU_DEP_1) | instskip(SKIP_2) | instid1(VALU_DEP_1)
	v_rcp_iflag_f32_e32 v3, v3
	s_waitcnt_depctr 0xfff
	v_mul_f32_e32 v3, 0x4f7ffffe, v3
	v_cvt_u32_f32_e32 v3, v3
	s_delay_alu instid0(VALU_DEP_1) | instskip(NEXT) | instid1(VALU_DEP_1)
	v_mul_lo_u32 v11, s5, v3
	v_mul_hi_u32 v11, v3, v11
	s_delay_alu instid0(VALU_DEP_1) | instskip(NEXT) | instid1(VALU_DEP_1)
	v_add_nc_u32_e32 v3, v3, v11
	v_mul_hi_u32 v3, v10, v3
	s_delay_alu instid0(VALU_DEP_1) | instskip(NEXT) | instid1(VALU_DEP_1)
	v_mul_lo_u32 v11, v3, s22
	v_sub_nc_u32_e32 v11, v10, v11
	s_delay_alu instid0(VALU_DEP_1) | instskip(SKIP_1) | instid1(VALU_DEP_2)
	v_subrev_nc_u32_e32 v13, s22, v11
	v_cmp_le_u32_e32 vcc_lo, s22, v11
	v_dual_cndmask_b32 v11, v11, v13 :: v_dual_add_nc_u32 v12, 1, v3
	s_delay_alu instid0(VALU_DEP_1) | instskip(NEXT) | instid1(VALU_DEP_2)
	v_cndmask_b32_e32 v3, v3, v12, vcc_lo
	v_cmp_le_u32_e32 vcc_lo, s22, v11
	s_delay_alu instid0(VALU_DEP_2) | instskip(NEXT) | instid1(VALU_DEP_1)
	v_add_nc_u32_e32 v12, 1, v3
	v_cndmask_b32_e32 v12, v3, v12, vcc_lo
	s_branch .LBB24_2
.LBB24_15:
	s_nop 0
	s_sendmsg sendmsg(MSG_DEALLOC_VGPRS)
	s_endpgm
	.section	.rodata,"a",@progbits
	.p2align	6, 0x0
	.amdhsa_kernel _ZN2at6native31max_unpooling2d_backward_kernelIfEEvlPKT_PKllllllPS2_
		.amdhsa_group_segment_fixed_size 0
		.amdhsa_private_segment_fixed_size 0
		.amdhsa_kernarg_size 328
		.amdhsa_user_sgpr_count 15
		.amdhsa_user_sgpr_dispatch_ptr 0
		.amdhsa_user_sgpr_queue_ptr 0
		.amdhsa_user_sgpr_kernarg_segment_ptr 1
		.amdhsa_user_sgpr_dispatch_id 0
		.amdhsa_user_sgpr_private_segment_size 0
		.amdhsa_wavefront_size32 1
		.amdhsa_uses_dynamic_stack 0
		.amdhsa_enable_private_segment 0
		.amdhsa_system_sgpr_workgroup_id_x 1
		.amdhsa_system_sgpr_workgroup_id_y 0
		.amdhsa_system_sgpr_workgroup_id_z 0
		.amdhsa_system_sgpr_workgroup_info 0
		.amdhsa_system_vgpr_workitem_id 0
		.amdhsa_next_free_vgpr 23
		.amdhsa_next_free_sgpr 32
		.amdhsa_reserve_vcc 1
		.amdhsa_float_round_mode_32 0
		.amdhsa_float_round_mode_16_64 0
		.amdhsa_float_denorm_mode_32 3
		.amdhsa_float_denorm_mode_16_64 3
		.amdhsa_dx10_clamp 1
		.amdhsa_ieee_mode 1
		.amdhsa_fp16_overflow 0
		.amdhsa_workgroup_processor_mode 1
		.amdhsa_memory_ordered 1
		.amdhsa_forward_progress 0
		.amdhsa_shared_vgpr_count 0
		.amdhsa_exception_fp_ieee_invalid_op 0
		.amdhsa_exception_fp_denorm_src 0
		.amdhsa_exception_fp_ieee_div_zero 0
		.amdhsa_exception_fp_ieee_overflow 0
		.amdhsa_exception_fp_ieee_underflow 0
		.amdhsa_exception_fp_ieee_inexact 0
		.amdhsa_exception_int_div_zero 0
	.end_amdhsa_kernel
	.section	.text._ZN2at6native31max_unpooling2d_backward_kernelIfEEvlPKT_PKllllllPS2_,"axG",@progbits,_ZN2at6native31max_unpooling2d_backward_kernelIfEEvlPKT_PKllllllPS2_,comdat
.Lfunc_end24:
	.size	_ZN2at6native31max_unpooling2d_backward_kernelIfEEvlPKT_PKllllllPS2_, .Lfunc_end24-_ZN2at6native31max_unpooling2d_backward_kernelIfEEvlPKT_PKllllllPS2_
                                        ; -- End function
	.section	.AMDGPU.csdata,"",@progbits
; Kernel info:
; codeLenInByte = 3388
; NumSgprs: 34
; NumVgprs: 23
; ScratchSize: 0
; MemoryBound: 0
; FloatMode: 240
; IeeeMode: 1
; LDSByteSize: 0 bytes/workgroup (compile time only)
; SGPRBlocks: 4
; VGPRBlocks: 2
; NumSGPRsForWavesPerEU: 34
; NumVGPRsForWavesPerEU: 23
; Occupancy: 16
; WaveLimiterHint : 1
; COMPUTE_PGM_RSRC2:SCRATCH_EN: 0
; COMPUTE_PGM_RSRC2:USER_SGPR: 15
; COMPUTE_PGM_RSRC2:TRAP_HANDLER: 0
; COMPUTE_PGM_RSRC2:TGID_X_EN: 1
; COMPUTE_PGM_RSRC2:TGID_Y_EN: 0
; COMPUTE_PGM_RSRC2:TGID_Z_EN: 0
; COMPUTE_PGM_RSRC2:TIDIG_COMP_CNT: 0
	.section	.text._ZN2at6native31max_unpooling2d_backward_kernelIN3c104HalfEEEvlPKT_PKllllllPS4_,"axG",@progbits,_ZN2at6native31max_unpooling2d_backward_kernelIN3c104HalfEEEvlPKT_PKllllllPS4_,comdat
	.protected	_ZN2at6native31max_unpooling2d_backward_kernelIN3c104HalfEEEvlPKT_PKllllllPS4_ ; -- Begin function _ZN2at6native31max_unpooling2d_backward_kernelIN3c104HalfEEEvlPKT_PKllllllPS4_
	.globl	_ZN2at6native31max_unpooling2d_backward_kernelIN3c104HalfEEEvlPKT_PKllllllPS4_
	.p2align	8
	.type	_ZN2at6native31max_unpooling2d_backward_kernelIN3c104HalfEEEvlPKT_PKllllllPS4_,@function
_ZN2at6native31max_unpooling2d_backward_kernelIN3c104HalfEEEvlPKT_PKllllllPS4_: ; @_ZN2at6native31max_unpooling2d_backward_kernelIN3c104HalfEEEvlPKT_PKllllllPS4_
; %bb.0:
	s_clause 0x1
	s_load_b32 s4, s[0:1], 0x54
	s_load_b512 s[16:31], s[0:1], 0x0
	v_mov_b32_e32 v2, 0
	s_add_u32 s2, s0, 0x48
	s_addc_u32 s3, s1, 0
	s_mov_b32 s5, exec_lo
	s_delay_alu instid0(VALU_DEP_1)
	v_mov_b32_e32 v1, v2
	s_waitcnt lgkmcnt(0)
	s_and_b32 s4, s4, 0xffff
	s_delay_alu instid0(VALU_DEP_1) | instid1(SALU_CYCLE_1)
	v_mad_u64_u32 v[4:5], null, s4, s15, v[0:1]
	s_delay_alu instid0(VALU_DEP_1)
	v_cmpx_gt_i64_e64 s[16:17], v[4:5]
	s_cbranch_execz .LBB25_15
; %bb.1:
	v_cvt_f32_u32_e32 v0, s26
	s_load_b32 s5, s[2:3], 0x0
	s_sub_i32 s2, 0, s26
	s_mul_hi_u32 s6, s30, s28
	s_mul_i32 s7, s31, s28
	v_rcp_iflag_f32_e32 v0, v0
	s_mov_b32 s12, 0
	s_waitcnt_depctr 0xfff
	v_dual_mov_b32 v3, v4 :: v_dual_mul_f32 v0, 0x4f7ffffe, v0
	s_delay_alu instid0(VALU_DEP_1)
	v_cvt_u32_f32_e32 v6, v0
	s_waitcnt lgkmcnt(0)
	s_mul_i32 s14, s5, s4
	s_ashr_i32 s4, s27, 31
	s_mov_b32 s15, s14
	v_mul_lo_u32 v0, s2, v6
	s_load_b64 s[2:3], s[0:1], 0x40
	s_mul_i32 s0, s30, s29
	s_mul_i32 s1, s30, s28
	s_add_i32 s0, s6, s0
	s_ashr_i32 s6, s25, 31
	s_add_i32 s13, s0, s7
	s_delay_alu instid0(VALU_DEP_1) | instskip(SKIP_1) | instid1(VALU_DEP_2)
	v_mul_hi_u32 v7, v6, v0
	v_dual_mov_b32 v0, s18 :: v_dual_mov_b32 v1, s19
	v_dual_mov_b32 v7, v3 :: v_dual_add_nc_u32 v14, v6, v7
	v_mov_b32_e32 v6, v2
	s_branch .LBB25_3
.LBB25_2:                               ;   in Loop: Header=BB25_3 Depth=1
	s_or_b32 exec_lo, exec_lo, s0
	v_lshlrev_b64 v[15:16], 3, v[8:9]
	s_delay_alu instid0(VALU_DEP_2)
	v_mul_lo_u32 v11, v12, s22
	v_ashrrev_i32_e32 v13, 31, v12
	v_mul_lo_u32 v17, v12, s23
	v_lshlrev_b64 v[8:9], 1, v[8:9]
	v_add_co_u32 v6, s0, v6, 0
	v_add_co_u32 v15, vcc_lo, s20, v15
	v_add_co_ci_u32_e32 v16, vcc_lo, s21, v16, vcc_lo
	v_sub_nc_u32_e32 v10, v10, v11
	v_mul_lo_u32 v13, v13, s22
	v_add_co_ci_u32_e64 v7, s0, s15, v7, s0
	global_load_b32 v3, v[15:16], off
	v_ashrrev_i32_e32 v11, 31, v10
	s_delay_alu instid0(VALU_DEP_1) | instskip(NEXT) | instid1(VALU_DEP_1)
	v_mad_u64_u32 v[15:16], null, v12, s22, v[10:11]
	v_add3_u32 v12, v13, v16, v17
	s_delay_alu instid0(VALU_DEP_2) | instskip(SKIP_1) | instid1(VALU_DEP_3)
	v_mul_lo_u32 v13, s13, v15
	v_mad_u64_u32 v[10:11], null, s1, v15, 0
	v_mul_lo_u32 v12, s1, v12
	s_delay_alu instid0(VALU_DEP_1) | instskip(NEXT) | instid1(VALU_DEP_1)
	v_add3_u32 v11, v11, v12, v13
	v_lshlrev_b64 v[10:11], 1, v[10:11]
	s_delay_alu instid0(VALU_DEP_1) | instskip(NEXT) | instid1(VALU_DEP_2)
	v_add_co_u32 v0, vcc_lo, v0, v10
	v_add_co_ci_u32_e32 v1, vcc_lo, v1, v11, vcc_lo
	s_waitcnt vmcnt(0)
	v_ashrrev_i64 v[12:13], 31, v[2:3]
	s_delay_alu instid0(VALU_DEP_1) | instskip(NEXT) | instid1(VALU_DEP_2)
	v_add_co_u32 v10, vcc_lo, v0, v12
	v_add_co_ci_u32_e32 v11, vcc_lo, v1, v13, vcc_lo
	v_add_co_u32 v4, vcc_lo, v4, s14
	v_add_co_ci_u32_e32 v5, vcc_lo, 0, v5, vcc_lo
	global_load_u16 v3, v[10:11], off
	s_waitcnt lgkmcnt(0)
	v_add_co_u32 v8, vcc_lo, s2, v8
	v_add_co_ci_u32_e32 v9, vcc_lo, s3, v9, vcc_lo
	v_cmp_le_i64_e32 vcc_lo, s[16:17], v[4:5]
	s_or_b32 s12, vcc_lo, s12
	s_waitcnt vmcnt(0)
	global_store_b16 v[8:9], v3, off
	s_and_not1_b32 exec_lo, exec_lo, s12
	s_cbranch_execz .LBB25_15
.LBB25_3:                               ; =>This Inner Loop Header: Depth=1
	s_delay_alu instid0(VALU_DEP_2) | instskip(SKIP_2) | instid1(VALU_DEP_2)
	v_ashrrev_i32_e32 v9, 31, v7
	v_mov_b32_e32 v8, v7
                                        ; implicit-def: $vgpr12_vgpr13
	s_mov_b32 s0, exec_lo
	v_or_b32_e32 v3, s27, v9
	s_delay_alu instid0(VALU_DEP_1)
	v_cmpx_ne_u64_e32 0, v[2:3]
	s_xor_b32 s7, exec_lo, s0
	s_cbranch_execz .LBB25_5
; %bb.4:                                ;   in Loop: Header=BB25_3 Depth=1
	s_add_u32 s8, s26, s4
	s_mov_b32 s5, s4
	s_addc_u32 s9, s27, s4
	s_delay_alu instid0(SALU_CYCLE_1) | instskip(NEXT) | instid1(SALU_CYCLE_1)
	s_xor_b64 s[8:9], s[8:9], s[4:5]
	v_cvt_f32_u32_e32 v3, s8
	v_cvt_f32_u32_e32 v10, s9
	s_sub_u32 s0, 0, s8
	s_subb_u32 s5, 0, s9
	s_delay_alu instid0(VALU_DEP_1) | instskip(NEXT) | instid1(VALU_DEP_1)
	v_fmac_f32_e32 v3, 0x4f800000, v10
	v_rcp_f32_e32 v3, v3
	s_waitcnt_depctr 0xfff
	v_mul_f32_e32 v3, 0x5f7ffffc, v3
	s_delay_alu instid0(VALU_DEP_1) | instskip(NEXT) | instid1(VALU_DEP_1)
	v_mul_f32_e32 v10, 0x2f800000, v3
	v_trunc_f32_e32 v10, v10
	s_delay_alu instid0(VALU_DEP_1) | instskip(SKIP_1) | instid1(VALU_DEP_2)
	v_fmac_f32_e32 v3, 0xcf800000, v10
	v_cvt_u32_f32_e32 v10, v10
	v_cvt_u32_f32_e32 v3, v3
	s_delay_alu instid0(VALU_DEP_2) | instskip(NEXT) | instid1(VALU_DEP_2)
	v_mul_lo_u32 v11, s0, v10
	v_mul_hi_u32 v12, s0, v3
	v_mul_lo_u32 v13, s5, v3
	s_delay_alu instid0(VALU_DEP_2) | instskip(SKIP_1) | instid1(VALU_DEP_2)
	v_add_nc_u32_e32 v11, v12, v11
	v_mul_lo_u32 v12, s0, v3
	v_add_nc_u32_e32 v11, v11, v13
	s_delay_alu instid0(VALU_DEP_2) | instskip(NEXT) | instid1(VALU_DEP_2)
	v_mul_hi_u32 v13, v3, v12
	v_mul_lo_u32 v15, v3, v11
	v_mul_hi_u32 v16, v3, v11
	v_mul_hi_u32 v17, v10, v12
	v_mul_lo_u32 v12, v10, v12
	v_mul_hi_u32 v18, v10, v11
	v_mul_lo_u32 v11, v10, v11
	v_add_co_u32 v13, vcc_lo, v13, v15
	v_add_co_ci_u32_e32 v15, vcc_lo, 0, v16, vcc_lo
	s_delay_alu instid0(VALU_DEP_2) | instskip(NEXT) | instid1(VALU_DEP_2)
	v_add_co_u32 v12, vcc_lo, v13, v12
	v_add_co_ci_u32_e32 v12, vcc_lo, v15, v17, vcc_lo
	v_add_co_ci_u32_e32 v13, vcc_lo, 0, v18, vcc_lo
	v_ashrrev_i32_e32 v17, 31, v9
	s_delay_alu instid0(VALU_DEP_3) | instskip(NEXT) | instid1(VALU_DEP_3)
	v_add_co_u32 v11, vcc_lo, v12, v11
	v_add_co_ci_u32_e32 v12, vcc_lo, 0, v13, vcc_lo
	s_delay_alu instid0(VALU_DEP_2) | instskip(NEXT) | instid1(VALU_DEP_2)
	v_add_co_u32 v3, vcc_lo, v3, v11
	v_add_co_ci_u32_e32 v10, vcc_lo, v10, v12, vcc_lo
	s_delay_alu instid0(VALU_DEP_2) | instskip(SKIP_1) | instid1(VALU_DEP_3)
	v_mul_hi_u32 v11, s0, v3
	v_mul_lo_u32 v13, s5, v3
	v_mul_lo_u32 v12, s0, v10
	s_delay_alu instid0(VALU_DEP_1) | instskip(SKIP_1) | instid1(VALU_DEP_2)
	v_add_nc_u32_e32 v11, v11, v12
	v_mul_lo_u32 v12, s0, v3
	v_add_nc_u32_e32 v11, v11, v13
	s_delay_alu instid0(VALU_DEP_2) | instskip(NEXT) | instid1(VALU_DEP_2)
	v_mul_hi_u32 v13, v3, v12
	v_mul_lo_u32 v15, v3, v11
	v_mul_hi_u32 v16, v3, v11
	v_mul_hi_u32 v18, v10, v12
	v_mul_lo_u32 v12, v10, v12
	v_mul_hi_u32 v19, v10, v11
	v_mul_lo_u32 v11, v10, v11
	v_add_co_u32 v13, vcc_lo, v13, v15
	v_add_co_ci_u32_e32 v15, vcc_lo, 0, v16, vcc_lo
	s_delay_alu instid0(VALU_DEP_2) | instskip(NEXT) | instid1(VALU_DEP_2)
	v_add_co_u32 v12, vcc_lo, v13, v12
	v_add_co_ci_u32_e32 v12, vcc_lo, v15, v18, vcc_lo
	v_add_co_ci_u32_e32 v13, vcc_lo, 0, v19, vcc_lo
	v_add_co_u32 v15, vcc_lo, v8, v17
	v_add_co_ci_u32_e32 v16, vcc_lo, v9, v17, vcc_lo
	s_delay_alu instid0(VALU_DEP_4) | instskip(NEXT) | instid1(VALU_DEP_4)
	v_add_co_u32 v11, vcc_lo, v12, v11
	v_add_co_ci_u32_e32 v12, vcc_lo, 0, v13, vcc_lo
	s_delay_alu instid0(VALU_DEP_4) | instskip(NEXT) | instid1(VALU_DEP_3)
	v_xor_b32_e32 v18, v15, v17
	v_add_co_u32 v3, vcc_lo, v3, v11
	s_delay_alu instid0(VALU_DEP_3) | instskip(SKIP_1) | instid1(VALU_DEP_3)
	v_add_co_ci_u32_e32 v19, vcc_lo, v10, v12, vcc_lo
	v_xor_b32_e32 v20, v16, v17
	v_mul_hi_u32 v21, v18, v3
	s_delay_alu instid0(VALU_DEP_3) | instskip(NEXT) | instid1(VALU_DEP_3)
	v_mad_u64_u32 v[10:11], null, v18, v19, 0
	v_mad_u64_u32 v[12:13], null, v20, v3, 0
	;; [unrolled: 1-line block ×3, first 2 shown]
	s_delay_alu instid0(VALU_DEP_3) | instskip(NEXT) | instid1(VALU_DEP_4)
	v_add_co_u32 v3, vcc_lo, v21, v10
	v_add_co_ci_u32_e32 v10, vcc_lo, 0, v11, vcc_lo
	s_delay_alu instid0(VALU_DEP_2) | instskip(NEXT) | instid1(VALU_DEP_2)
	v_add_co_u32 v3, vcc_lo, v3, v12
	v_add_co_ci_u32_e32 v3, vcc_lo, v10, v13, vcc_lo
	v_add_co_ci_u32_e32 v10, vcc_lo, 0, v16, vcc_lo
	s_delay_alu instid0(VALU_DEP_2) | instskip(NEXT) | instid1(VALU_DEP_2)
	v_add_co_u32 v3, vcc_lo, v3, v15
	v_add_co_ci_u32_e32 v12, vcc_lo, 0, v10, vcc_lo
	s_delay_alu instid0(VALU_DEP_2) | instskip(SKIP_1) | instid1(VALU_DEP_3)
	v_mul_lo_u32 v13, s9, v3
	v_mad_u64_u32 v[10:11], null, s8, v3, 0
	v_mul_lo_u32 v15, s8, v12
	s_delay_alu instid0(VALU_DEP_2) | instskip(NEXT) | instid1(VALU_DEP_2)
	v_sub_co_u32 v10, vcc_lo, v18, v10
	v_add3_u32 v11, v11, v15, v13
	s_delay_alu instid0(VALU_DEP_1) | instskip(NEXT) | instid1(VALU_DEP_1)
	v_sub_nc_u32_e32 v13, v20, v11
	v_subrev_co_ci_u32_e64 v13, s0, s9, v13, vcc_lo
	v_add_co_u32 v15, s0, v3, 2
	s_delay_alu instid0(VALU_DEP_1) | instskip(SKIP_3) | instid1(VALU_DEP_3)
	v_add_co_ci_u32_e64 v16, s0, 0, v12, s0
	v_sub_co_u32 v18, s0, v10, s8
	v_sub_co_ci_u32_e32 v11, vcc_lo, v20, v11, vcc_lo
	v_subrev_co_ci_u32_e64 v13, s0, 0, v13, s0
	v_cmp_le_u32_e32 vcc_lo, s8, v18
	s_delay_alu instid0(VALU_DEP_3) | instskip(SKIP_1) | instid1(VALU_DEP_4)
	v_cmp_eq_u32_e64 s0, s9, v11
	v_cndmask_b32_e64 v18, 0, -1, vcc_lo
	v_cmp_le_u32_e32 vcc_lo, s9, v13
	v_cndmask_b32_e64 v19, 0, -1, vcc_lo
	v_cmp_le_u32_e32 vcc_lo, s8, v10
	;; [unrolled: 2-line block ×3, first 2 shown]
	v_cndmask_b32_e64 v20, 0, -1, vcc_lo
	v_cmp_eq_u32_e32 vcc_lo, s9, v13
	s_delay_alu instid0(VALU_DEP_2) | instskip(SKIP_3) | instid1(VALU_DEP_3)
	v_cndmask_b32_e64 v10, v20, v10, s0
	v_cndmask_b32_e32 v13, v19, v18, vcc_lo
	v_add_co_u32 v18, vcc_lo, v3, 1
	v_add_co_ci_u32_e32 v19, vcc_lo, 0, v12, vcc_lo
	v_cmp_ne_u32_e32 vcc_lo, 0, v13
	s_delay_alu instid0(VALU_DEP_2) | instskip(NEXT) | instid1(VALU_DEP_4)
	v_cndmask_b32_e32 v11, v19, v16, vcc_lo
	v_cndmask_b32_e32 v13, v18, v15, vcc_lo
	v_cmp_ne_u32_e32 vcc_lo, 0, v10
	v_xor_b32_e32 v10, s4, v17
	s_delay_alu instid0(VALU_DEP_3) | instskip(SKIP_1) | instid1(VALU_DEP_2)
	v_cndmask_b32_e32 v3, v3, v13, vcc_lo
	v_cndmask_b32_e32 v11, v12, v11, vcc_lo
	v_xor_b32_e32 v3, v3, v10
	s_delay_alu instid0(VALU_DEP_2) | instskip(NEXT) | instid1(VALU_DEP_2)
	v_xor_b32_e32 v11, v11, v10
	v_sub_co_u32 v12, vcc_lo, v3, v10
	s_delay_alu instid0(VALU_DEP_2)
	v_sub_co_ci_u32_e32 v13, vcc_lo, v11, v10, vcc_lo
.LBB25_5:                               ;   in Loop: Header=BB25_3 Depth=1
	s_and_not1_saveexec_b32 s0, s7
; %bb.6:                                ;   in Loop: Header=BB25_3 Depth=1
	v_mul_hi_u32 v3, v7, v14
	v_mov_b32_e32 v13, v2
	s_delay_alu instid0(VALU_DEP_2) | instskip(NEXT) | instid1(VALU_DEP_1)
	v_mul_lo_u32 v10, v3, s26
	v_sub_nc_u32_e32 v10, v7, v10
	s_delay_alu instid0(VALU_DEP_1) | instskip(SKIP_1) | instid1(VALU_DEP_2)
	v_subrev_nc_u32_e32 v12, s26, v10
	v_cmp_le_u32_e32 vcc_lo, s26, v10
	v_dual_cndmask_b32 v10, v10, v12 :: v_dual_add_nc_u32 v11, 1, v3
	s_delay_alu instid0(VALU_DEP_1) | instskip(NEXT) | instid1(VALU_DEP_2)
	v_cndmask_b32_e32 v3, v3, v11, vcc_lo
	v_cmp_le_u32_e32 vcc_lo, s26, v10
	s_delay_alu instid0(VALU_DEP_2) | instskip(NEXT) | instid1(VALU_DEP_1)
	v_add_nc_u32_e32 v11, 1, v3
	v_cndmask_b32_e32 v12, v3, v11, vcc_lo
; %bb.7:                                ;   in Loop: Header=BB25_3 Depth=1
	s_or_b32 exec_lo, exec_lo, s0
	v_or_b32_e32 v3, s25, v13
                                        ; implicit-def: $vgpr10_vgpr11
	s_mov_b32 s0, exec_lo
	s_delay_alu instid0(VALU_DEP_1)
	v_cmpx_ne_u64_e32 0, v[2:3]
	s_xor_b32 s5, exec_lo, s0
	s_cbranch_execz .LBB25_9
; %bb.8:                                ;   in Loop: Header=BB25_3 Depth=1
	s_add_u32 s8, s24, s6
	s_mov_b32 s7, s6
	s_addc_u32 s9, s25, s6
	s_delay_alu instid0(SALU_CYCLE_1) | instskip(NEXT) | instid1(SALU_CYCLE_1)
	s_xor_b64 s[8:9], s[8:9], s[6:7]
	v_cvt_f32_u32_e32 v3, s8
	v_cvt_f32_u32_e32 v10, s9
	s_sub_u32 s0, 0, s8
	s_subb_u32 s7, 0, s9
	s_delay_alu instid0(VALU_DEP_1) | instskip(NEXT) | instid1(VALU_DEP_1)
	v_fmac_f32_e32 v3, 0x4f800000, v10
	v_rcp_f32_e32 v3, v3
	s_waitcnt_depctr 0xfff
	v_mul_f32_e32 v3, 0x5f7ffffc, v3
	s_delay_alu instid0(VALU_DEP_1) | instskip(NEXT) | instid1(VALU_DEP_1)
	v_mul_f32_e32 v10, 0x2f800000, v3
	v_trunc_f32_e32 v10, v10
	s_delay_alu instid0(VALU_DEP_1) | instskip(SKIP_1) | instid1(VALU_DEP_2)
	v_fmac_f32_e32 v3, 0xcf800000, v10
	v_cvt_u32_f32_e32 v10, v10
	v_cvt_u32_f32_e32 v3, v3
	s_delay_alu instid0(VALU_DEP_2) | instskip(NEXT) | instid1(VALU_DEP_2)
	v_mul_lo_u32 v11, s0, v10
	v_mul_hi_u32 v15, s0, v3
	v_mul_lo_u32 v16, s7, v3
	s_delay_alu instid0(VALU_DEP_2) | instskip(SKIP_1) | instid1(VALU_DEP_2)
	v_add_nc_u32_e32 v11, v15, v11
	v_mul_lo_u32 v15, s0, v3
	v_add_nc_u32_e32 v11, v11, v16
	s_delay_alu instid0(VALU_DEP_2) | instskip(NEXT) | instid1(VALU_DEP_2)
	v_mul_hi_u32 v16, v3, v15
	v_mul_lo_u32 v17, v3, v11
	v_mul_hi_u32 v18, v3, v11
	v_mul_hi_u32 v19, v10, v15
	v_mul_lo_u32 v15, v10, v15
	v_mul_hi_u32 v20, v10, v11
	v_mul_lo_u32 v11, v10, v11
	v_add_co_u32 v16, vcc_lo, v16, v17
	v_add_co_ci_u32_e32 v17, vcc_lo, 0, v18, vcc_lo
	s_delay_alu instid0(VALU_DEP_2) | instskip(NEXT) | instid1(VALU_DEP_2)
	v_add_co_u32 v15, vcc_lo, v16, v15
	v_add_co_ci_u32_e32 v15, vcc_lo, v17, v19, vcc_lo
	v_add_co_ci_u32_e32 v16, vcc_lo, 0, v20, vcc_lo
	v_ashrrev_i32_e32 v19, 31, v13
	s_delay_alu instid0(VALU_DEP_3) | instskip(NEXT) | instid1(VALU_DEP_3)
	v_add_co_u32 v11, vcc_lo, v15, v11
	v_add_co_ci_u32_e32 v15, vcc_lo, 0, v16, vcc_lo
	s_delay_alu instid0(VALU_DEP_2) | instskip(NEXT) | instid1(VALU_DEP_2)
	v_add_co_u32 v3, vcc_lo, v3, v11
	v_add_co_ci_u32_e32 v10, vcc_lo, v10, v15, vcc_lo
	s_delay_alu instid0(VALU_DEP_2) | instskip(SKIP_1) | instid1(VALU_DEP_3)
	v_mul_hi_u32 v11, s0, v3
	v_mul_lo_u32 v16, s7, v3
	v_mul_lo_u32 v15, s0, v10
	s_delay_alu instid0(VALU_DEP_1) | instskip(SKIP_1) | instid1(VALU_DEP_2)
	v_add_nc_u32_e32 v11, v11, v15
	v_mul_lo_u32 v15, s0, v3
	v_add_nc_u32_e32 v11, v11, v16
	s_delay_alu instid0(VALU_DEP_2) | instskip(NEXT) | instid1(VALU_DEP_2)
	v_mul_hi_u32 v16, v3, v15
	v_mul_lo_u32 v17, v3, v11
	v_mul_hi_u32 v18, v3, v11
	v_mul_hi_u32 v20, v10, v15
	v_mul_lo_u32 v15, v10, v15
	v_mul_hi_u32 v21, v10, v11
	v_mul_lo_u32 v11, v10, v11
	v_add_co_u32 v16, vcc_lo, v16, v17
	v_add_co_ci_u32_e32 v17, vcc_lo, 0, v18, vcc_lo
	s_delay_alu instid0(VALU_DEP_2) | instskip(NEXT) | instid1(VALU_DEP_2)
	v_add_co_u32 v15, vcc_lo, v16, v15
	v_add_co_ci_u32_e32 v15, vcc_lo, v17, v20, vcc_lo
	v_add_co_ci_u32_e32 v16, vcc_lo, 0, v21, vcc_lo
	v_add_co_u32 v12, vcc_lo, v12, v19
	v_add_co_ci_u32_e32 v13, vcc_lo, v13, v19, vcc_lo
	s_delay_alu instid0(VALU_DEP_4) | instskip(NEXT) | instid1(VALU_DEP_4)
	v_add_co_u32 v11, vcc_lo, v15, v11
	v_add_co_ci_u32_e32 v15, vcc_lo, 0, v16, vcc_lo
	s_delay_alu instid0(VALU_DEP_4) | instskip(NEXT) | instid1(VALU_DEP_3)
	v_xor_b32_e32 v17, v12, v19
	v_add_co_u32 v3, vcc_lo, v3, v11
	s_delay_alu instid0(VALU_DEP_3) | instskip(SKIP_1) | instid1(VALU_DEP_3)
	v_add_co_ci_u32_e32 v18, vcc_lo, v10, v15, vcc_lo
	v_xor_b32_e32 v20, v13, v19
	v_mul_hi_u32 v21, v17, v3
	s_delay_alu instid0(VALU_DEP_3) | instskip(NEXT) | instid1(VALU_DEP_3)
	v_mad_u64_u32 v[10:11], null, v17, v18, 0
	v_mad_u64_u32 v[12:13], null, v20, v3, 0
	;; [unrolled: 1-line block ×3, first 2 shown]
	s_delay_alu instid0(VALU_DEP_3) | instskip(NEXT) | instid1(VALU_DEP_4)
	v_add_co_u32 v3, vcc_lo, v21, v10
	v_add_co_ci_u32_e32 v10, vcc_lo, 0, v11, vcc_lo
	s_delay_alu instid0(VALU_DEP_2) | instskip(NEXT) | instid1(VALU_DEP_2)
	v_add_co_u32 v3, vcc_lo, v3, v12
	v_add_co_ci_u32_e32 v3, vcc_lo, v10, v13, vcc_lo
	v_add_co_ci_u32_e32 v10, vcc_lo, 0, v16, vcc_lo
	s_delay_alu instid0(VALU_DEP_2) | instskip(NEXT) | instid1(VALU_DEP_2)
	v_add_co_u32 v3, vcc_lo, v3, v15
	v_add_co_ci_u32_e32 v12, vcc_lo, 0, v10, vcc_lo
	s_delay_alu instid0(VALU_DEP_2) | instskip(SKIP_1) | instid1(VALU_DEP_3)
	v_mul_lo_u32 v13, s9, v3
	v_mad_u64_u32 v[10:11], null, s8, v3, 0
	v_mul_lo_u32 v15, s8, v12
	s_delay_alu instid0(VALU_DEP_2) | instskip(NEXT) | instid1(VALU_DEP_2)
	v_sub_co_u32 v10, vcc_lo, v17, v10
	v_add3_u32 v11, v11, v15, v13
	s_delay_alu instid0(VALU_DEP_1) | instskip(NEXT) | instid1(VALU_DEP_1)
	v_sub_nc_u32_e32 v13, v20, v11
	v_subrev_co_ci_u32_e64 v13, s0, s9, v13, vcc_lo
	v_add_co_u32 v15, s0, v3, 2
	s_delay_alu instid0(VALU_DEP_1) | instskip(SKIP_3) | instid1(VALU_DEP_3)
	v_add_co_ci_u32_e64 v16, s0, 0, v12, s0
	v_sub_co_u32 v17, s0, v10, s8
	v_sub_co_ci_u32_e32 v11, vcc_lo, v20, v11, vcc_lo
	v_subrev_co_ci_u32_e64 v13, s0, 0, v13, s0
	v_cmp_le_u32_e32 vcc_lo, s8, v17
	s_delay_alu instid0(VALU_DEP_3) | instskip(SKIP_1) | instid1(VALU_DEP_4)
	v_cmp_eq_u32_e64 s0, s9, v11
	v_cndmask_b32_e64 v17, 0, -1, vcc_lo
	v_cmp_le_u32_e32 vcc_lo, s9, v13
	v_cndmask_b32_e64 v18, 0, -1, vcc_lo
	v_cmp_le_u32_e32 vcc_lo, s8, v10
	;; [unrolled: 2-line block ×3, first 2 shown]
	v_cndmask_b32_e64 v20, 0, -1, vcc_lo
	v_cmp_eq_u32_e32 vcc_lo, s9, v13
	s_delay_alu instid0(VALU_DEP_2) | instskip(SKIP_3) | instid1(VALU_DEP_3)
	v_cndmask_b32_e64 v10, v20, v10, s0
	v_cndmask_b32_e32 v13, v18, v17, vcc_lo
	v_add_co_u32 v17, vcc_lo, v3, 1
	v_add_co_ci_u32_e32 v18, vcc_lo, 0, v12, vcc_lo
	v_cmp_ne_u32_e32 vcc_lo, 0, v13
	s_delay_alu instid0(VALU_DEP_2) | instskip(NEXT) | instid1(VALU_DEP_4)
	v_cndmask_b32_e32 v11, v18, v16, vcc_lo
	v_cndmask_b32_e32 v13, v17, v15, vcc_lo
	v_cmp_ne_u32_e32 vcc_lo, 0, v10
	v_xor_b32_e32 v15, s6, v19
	s_delay_alu instid0(VALU_DEP_3) | instskip(NEXT) | instid1(VALU_DEP_1)
	v_dual_cndmask_b32 v3, v3, v13 :: v_dual_cndmask_b32 v10, v12, v11
                                        ; implicit-def: $vgpr12_vgpr13
	v_xor_b32_e32 v3, v3, v15
	s_delay_alu instid0(VALU_DEP_2) | instskip(NEXT) | instid1(VALU_DEP_2)
	v_xor_b32_e32 v11, v10, v15
	v_sub_co_u32 v10, vcc_lo, v3, v15
	s_delay_alu instid0(VALU_DEP_2)
	v_sub_co_ci_u32_e32 v11, vcc_lo, v11, v15, vcc_lo
.LBB25_9:                               ;   in Loop: Header=BB25_3 Depth=1
	s_and_not1_saveexec_b32 s0, s5
	s_cbranch_execz .LBB25_11
; %bb.10:                               ;   in Loop: Header=BB25_3 Depth=1
	v_cvt_f32_u32_e32 v3, s24
	s_sub_i32 s5, 0, s24
	s_delay_alu instid0(VALU_DEP_1) | instskip(SKIP_2) | instid1(VALU_DEP_1)
	v_rcp_iflag_f32_e32 v3, v3
	s_waitcnt_depctr 0xfff
	v_mul_f32_e32 v3, 0x4f7ffffe, v3
	v_cvt_u32_f32_e32 v3, v3
	s_delay_alu instid0(VALU_DEP_1) | instskip(NEXT) | instid1(VALU_DEP_1)
	v_mul_lo_u32 v10, s5, v3
	v_mul_hi_u32 v10, v3, v10
	s_delay_alu instid0(VALU_DEP_1) | instskip(NEXT) | instid1(VALU_DEP_1)
	v_add_nc_u32_e32 v3, v3, v10
	v_mul_hi_u32 v3, v12, v3
	s_delay_alu instid0(VALU_DEP_1) | instskip(SKIP_1) | instid1(VALU_DEP_2)
	v_mul_lo_u32 v10, v3, s24
	v_add_nc_u32_e32 v11, 1, v3
	v_sub_nc_u32_e32 v10, v12, v10
	s_delay_alu instid0(VALU_DEP_1) | instskip(SKIP_1) | instid1(VALU_DEP_2)
	v_subrev_nc_u32_e32 v12, s24, v10
	v_cmp_le_u32_e32 vcc_lo, s24, v10
	v_dual_cndmask_b32 v10, v10, v12 :: v_dual_cndmask_b32 v3, v3, v11
	s_delay_alu instid0(VALU_DEP_1) | instskip(NEXT) | instid1(VALU_DEP_2)
	v_cmp_le_u32_e32 vcc_lo, s24, v10
	v_add_nc_u32_e32 v11, 1, v3
	s_delay_alu instid0(VALU_DEP_1)
	v_dual_cndmask_b32 v10, v3, v11 :: v_dual_mov_b32 v11, v2
.LBB25_11:                              ;   in Loop: Header=BB25_3 Depth=1
	s_or_b32 exec_lo, exec_lo, s0
	s_delay_alu instid0(VALU_DEP_1) | instskip(SKIP_1) | instid1(VALU_DEP_1)
	v_or_b32_e32 v3, s23, v11
                                        ; implicit-def: $vgpr12_vgpr13
	s_mov_b32 s0, exec_lo
	v_cmpx_ne_u64_e32 0, v[2:3]
	s_xor_b32 s5, exec_lo, s0
	s_cbranch_execz .LBB25_13
; %bb.12:                               ;   in Loop: Header=BB25_3 Depth=1
	s_ashr_i32 s8, s23, 31
	s_delay_alu instid0(SALU_CYCLE_1) | instskip(SKIP_2) | instid1(SALU_CYCLE_1)
	s_add_u32 s10, s22, s8
	s_mov_b32 s9, s8
	s_addc_u32 s11, s23, s8
	s_xor_b64 s[10:11], s[10:11], s[8:9]
	s_delay_alu instid0(SALU_CYCLE_1) | instskip(SKIP_3) | instid1(VALU_DEP_1)
	v_cvt_f32_u32_e32 v3, s10
	v_cvt_f32_u32_e32 v12, s11
	s_sub_u32 s0, 0, s10
	s_subb_u32 s7, 0, s11
	v_fmac_f32_e32 v3, 0x4f800000, v12
	s_delay_alu instid0(VALU_DEP_1) | instskip(SKIP_2) | instid1(VALU_DEP_1)
	v_rcp_f32_e32 v3, v3
	s_waitcnt_depctr 0xfff
	v_mul_f32_e32 v3, 0x5f7ffffc, v3
	v_mul_f32_e32 v12, 0x2f800000, v3
	s_delay_alu instid0(VALU_DEP_1) | instskip(NEXT) | instid1(VALU_DEP_1)
	v_trunc_f32_e32 v12, v12
	v_fmac_f32_e32 v3, 0xcf800000, v12
	v_cvt_u32_f32_e32 v12, v12
	s_delay_alu instid0(VALU_DEP_2) | instskip(NEXT) | instid1(VALU_DEP_2)
	v_cvt_u32_f32_e32 v3, v3
	v_mul_lo_u32 v13, s0, v12
	s_delay_alu instid0(VALU_DEP_2) | instskip(SKIP_1) | instid1(VALU_DEP_2)
	v_mul_hi_u32 v15, s0, v3
	v_mul_lo_u32 v16, s7, v3
	v_add_nc_u32_e32 v13, v15, v13
	v_mul_lo_u32 v15, s0, v3
	s_delay_alu instid0(VALU_DEP_2) | instskip(NEXT) | instid1(VALU_DEP_2)
	v_add_nc_u32_e32 v13, v13, v16
	v_mul_hi_u32 v16, v3, v15
	s_delay_alu instid0(VALU_DEP_2)
	v_mul_lo_u32 v17, v3, v13
	v_mul_hi_u32 v18, v3, v13
	v_mul_hi_u32 v19, v12, v15
	v_mul_lo_u32 v15, v12, v15
	v_mul_hi_u32 v20, v12, v13
	v_mul_lo_u32 v13, v12, v13
	v_add_co_u32 v16, vcc_lo, v16, v17
	v_add_co_ci_u32_e32 v17, vcc_lo, 0, v18, vcc_lo
	s_delay_alu instid0(VALU_DEP_2) | instskip(NEXT) | instid1(VALU_DEP_2)
	v_add_co_u32 v15, vcc_lo, v16, v15
	v_add_co_ci_u32_e32 v15, vcc_lo, v17, v19, vcc_lo
	v_add_co_ci_u32_e32 v16, vcc_lo, 0, v20, vcc_lo
	v_ashrrev_i32_e32 v19, 31, v11
	s_delay_alu instid0(VALU_DEP_3) | instskip(NEXT) | instid1(VALU_DEP_3)
	v_add_co_u32 v13, vcc_lo, v15, v13
	v_add_co_ci_u32_e32 v15, vcc_lo, 0, v16, vcc_lo
	s_delay_alu instid0(VALU_DEP_2) | instskip(NEXT) | instid1(VALU_DEP_2)
	v_add_co_u32 v3, vcc_lo, v3, v13
	v_add_co_ci_u32_e32 v12, vcc_lo, v12, v15, vcc_lo
	s_delay_alu instid0(VALU_DEP_2) | instskip(SKIP_1) | instid1(VALU_DEP_3)
	v_mul_hi_u32 v13, s0, v3
	v_mul_lo_u32 v16, s7, v3
	v_mul_lo_u32 v15, s0, v12
	s_delay_alu instid0(VALU_DEP_1) | instskip(SKIP_1) | instid1(VALU_DEP_2)
	v_add_nc_u32_e32 v13, v13, v15
	v_mul_lo_u32 v15, s0, v3
	v_add_nc_u32_e32 v13, v13, v16
	s_delay_alu instid0(VALU_DEP_2) | instskip(NEXT) | instid1(VALU_DEP_2)
	v_mul_hi_u32 v16, v3, v15
	v_mul_lo_u32 v17, v3, v13
	v_mul_hi_u32 v18, v3, v13
	v_mul_hi_u32 v20, v12, v15
	v_mul_lo_u32 v15, v12, v15
	v_mul_hi_u32 v21, v12, v13
	v_mul_lo_u32 v13, v12, v13
	v_add_co_u32 v16, vcc_lo, v16, v17
	v_add_co_ci_u32_e32 v17, vcc_lo, 0, v18, vcc_lo
	s_delay_alu instid0(VALU_DEP_2) | instskip(NEXT) | instid1(VALU_DEP_2)
	v_add_co_u32 v15, vcc_lo, v16, v15
	v_add_co_ci_u32_e32 v15, vcc_lo, v17, v20, vcc_lo
	v_add_co_ci_u32_e32 v16, vcc_lo, 0, v21, vcc_lo
	v_add_co_u32 v17, vcc_lo, v10, v19
	v_add_co_ci_u32_e32 v11, vcc_lo, v11, v19, vcc_lo
	s_delay_alu instid0(VALU_DEP_4) | instskip(NEXT) | instid1(VALU_DEP_4)
	v_add_co_u32 v13, vcc_lo, v15, v13
	v_add_co_ci_u32_e32 v15, vcc_lo, 0, v16, vcc_lo
	s_delay_alu instid0(VALU_DEP_4) | instskip(NEXT) | instid1(VALU_DEP_3)
	v_xor_b32_e32 v20, v17, v19
	v_add_co_u32 v3, vcc_lo, v3, v13
	s_delay_alu instid0(VALU_DEP_3) | instskip(SKIP_1) | instid1(VALU_DEP_3)
	v_add_co_ci_u32_e32 v13, vcc_lo, v12, v15, vcc_lo
	v_xor_b32_e32 v21, v11, v19
	v_mul_hi_u32 v22, v20, v3
	s_delay_alu instid0(VALU_DEP_3) | instskip(NEXT) | instid1(VALU_DEP_3)
	v_mad_u64_u32 v[11:12], null, v20, v13, 0
	v_mad_u64_u32 v[15:16], null, v21, v3, 0
	v_mad_u64_u32 v[17:18], null, v21, v13, 0
	s_delay_alu instid0(VALU_DEP_3) | instskip(NEXT) | instid1(VALU_DEP_4)
	v_add_co_u32 v3, vcc_lo, v22, v11
	v_add_co_ci_u32_e32 v11, vcc_lo, 0, v12, vcc_lo
	s_delay_alu instid0(VALU_DEP_2) | instskip(NEXT) | instid1(VALU_DEP_2)
	v_add_co_u32 v3, vcc_lo, v3, v15
	v_add_co_ci_u32_e32 v3, vcc_lo, v11, v16, vcc_lo
	v_add_co_ci_u32_e32 v11, vcc_lo, 0, v18, vcc_lo
	s_delay_alu instid0(VALU_DEP_2) | instskip(NEXT) | instid1(VALU_DEP_2)
	v_add_co_u32 v3, vcc_lo, v3, v17
	v_add_co_ci_u32_e32 v13, vcc_lo, 0, v11, vcc_lo
	s_delay_alu instid0(VALU_DEP_2) | instskip(SKIP_1) | instid1(VALU_DEP_3)
	v_mul_lo_u32 v15, s11, v3
	v_mad_u64_u32 v[11:12], null, s10, v3, 0
	v_mul_lo_u32 v13, s10, v13
	s_delay_alu instid0(VALU_DEP_2) | instskip(NEXT) | instid1(VALU_DEP_2)
	v_sub_co_u32 v11, vcc_lo, v20, v11
	v_add3_u32 v12, v12, v13, v15
	v_add_co_u32 v15, s0, v3, 2
	s_delay_alu instid0(VALU_DEP_2) | instskip(NEXT) | instid1(VALU_DEP_1)
	v_sub_nc_u32_e32 v13, v21, v12
	v_subrev_co_ci_u32_e64 v13, s0, s11, v13, vcc_lo
	v_sub_co_u32 v16, s0, v11, s10
	v_sub_co_ci_u32_e32 v12, vcc_lo, v21, v12, vcc_lo
	s_delay_alu instid0(VALU_DEP_3) | instskip(NEXT) | instid1(VALU_DEP_3)
	v_subrev_co_ci_u32_e64 v13, s0, 0, v13, s0
	v_cmp_le_u32_e32 vcc_lo, s10, v16
	v_cndmask_b32_e64 v16, 0, -1, vcc_lo
	s_delay_alu instid0(VALU_DEP_3)
	v_cmp_le_u32_e32 vcc_lo, s11, v13
	v_cndmask_b32_e64 v17, 0, -1, vcc_lo
	v_cmp_le_u32_e32 vcc_lo, s10, v11
	v_cndmask_b32_e64 v11, 0, -1, vcc_lo
	;; [unrolled: 2-line block ×3, first 2 shown]
	v_cmp_eq_u32_e32 vcc_lo, s11, v13
	v_cndmask_b32_e32 v13, v17, v16, vcc_lo
	v_add_co_u32 v16, vcc_lo, v3, 1
	v_cmp_eq_u32_e32 vcc_lo, s11, v12
	v_cndmask_b32_e32 v11, v18, v11, vcc_lo
	s_delay_alu instid0(VALU_DEP_4) | instskip(NEXT) | instid1(VALU_DEP_4)
	v_cmp_ne_u32_e32 vcc_lo, 0, v13
	v_cndmask_b32_e32 v12, v16, v15, vcc_lo
	s_delay_alu instid0(VALU_DEP_3) | instskip(SKIP_1) | instid1(VALU_DEP_3)
	v_cmp_ne_u32_e32 vcc_lo, 0, v11
	v_xor_b32_e32 v11, s8, v19
	v_cndmask_b32_e32 v3, v3, v12, vcc_lo
	s_delay_alu instid0(VALU_DEP_1) | instskip(NEXT) | instid1(VALU_DEP_1)
	v_xor_b32_e32 v3, v3, v11
	v_sub_co_u32 v12, vcc_lo, v3, v11
.LBB25_13:                              ;   in Loop: Header=BB25_3 Depth=1
	s_and_not1_saveexec_b32 s0, s5
	s_cbranch_execz .LBB25_2
; %bb.14:                               ;   in Loop: Header=BB25_3 Depth=1
	v_cvt_f32_u32_e32 v3, s22
	s_sub_i32 s5, 0, s22
	s_delay_alu instid0(VALU_DEP_1) | instskip(SKIP_2) | instid1(VALU_DEP_1)
	v_rcp_iflag_f32_e32 v3, v3
	s_waitcnt_depctr 0xfff
	v_mul_f32_e32 v3, 0x4f7ffffe, v3
	v_cvt_u32_f32_e32 v3, v3
	s_delay_alu instid0(VALU_DEP_1) | instskip(NEXT) | instid1(VALU_DEP_1)
	v_mul_lo_u32 v11, s5, v3
	v_mul_hi_u32 v11, v3, v11
	s_delay_alu instid0(VALU_DEP_1) | instskip(NEXT) | instid1(VALU_DEP_1)
	v_add_nc_u32_e32 v3, v3, v11
	v_mul_hi_u32 v3, v10, v3
	s_delay_alu instid0(VALU_DEP_1) | instskip(NEXT) | instid1(VALU_DEP_1)
	v_mul_lo_u32 v11, v3, s22
	v_sub_nc_u32_e32 v11, v10, v11
	s_delay_alu instid0(VALU_DEP_1) | instskip(SKIP_1) | instid1(VALU_DEP_2)
	v_subrev_nc_u32_e32 v13, s22, v11
	v_cmp_le_u32_e32 vcc_lo, s22, v11
	v_dual_cndmask_b32 v11, v11, v13 :: v_dual_add_nc_u32 v12, 1, v3
	s_delay_alu instid0(VALU_DEP_1) | instskip(NEXT) | instid1(VALU_DEP_2)
	v_cndmask_b32_e32 v3, v3, v12, vcc_lo
	v_cmp_le_u32_e32 vcc_lo, s22, v11
	s_delay_alu instid0(VALU_DEP_2) | instskip(NEXT) | instid1(VALU_DEP_1)
	v_add_nc_u32_e32 v12, 1, v3
	v_cndmask_b32_e32 v12, v3, v12, vcc_lo
	s_branch .LBB25_2
.LBB25_15:
	s_nop 0
	s_sendmsg sendmsg(MSG_DEALLOC_VGPRS)
	s_endpgm
	.section	.rodata,"a",@progbits
	.p2align	6, 0x0
	.amdhsa_kernel _ZN2at6native31max_unpooling2d_backward_kernelIN3c104HalfEEEvlPKT_PKllllllPS4_
		.amdhsa_group_segment_fixed_size 0
		.amdhsa_private_segment_fixed_size 0
		.amdhsa_kernarg_size 328
		.amdhsa_user_sgpr_count 15
		.amdhsa_user_sgpr_dispatch_ptr 0
		.amdhsa_user_sgpr_queue_ptr 0
		.amdhsa_user_sgpr_kernarg_segment_ptr 1
		.amdhsa_user_sgpr_dispatch_id 0
		.amdhsa_user_sgpr_private_segment_size 0
		.amdhsa_wavefront_size32 1
		.amdhsa_uses_dynamic_stack 0
		.amdhsa_enable_private_segment 0
		.amdhsa_system_sgpr_workgroup_id_x 1
		.amdhsa_system_sgpr_workgroup_id_y 0
		.amdhsa_system_sgpr_workgroup_id_z 0
		.amdhsa_system_sgpr_workgroup_info 0
		.amdhsa_system_vgpr_workitem_id 0
		.amdhsa_next_free_vgpr 23
		.amdhsa_next_free_sgpr 32
		.amdhsa_reserve_vcc 1
		.amdhsa_float_round_mode_32 0
		.amdhsa_float_round_mode_16_64 0
		.amdhsa_float_denorm_mode_32 3
		.amdhsa_float_denorm_mode_16_64 3
		.amdhsa_dx10_clamp 1
		.amdhsa_ieee_mode 1
		.amdhsa_fp16_overflow 0
		.amdhsa_workgroup_processor_mode 1
		.amdhsa_memory_ordered 1
		.amdhsa_forward_progress 0
		.amdhsa_shared_vgpr_count 0
		.amdhsa_exception_fp_ieee_invalid_op 0
		.amdhsa_exception_fp_denorm_src 0
		.amdhsa_exception_fp_ieee_div_zero 0
		.amdhsa_exception_fp_ieee_overflow 0
		.amdhsa_exception_fp_ieee_underflow 0
		.amdhsa_exception_fp_ieee_inexact 0
		.amdhsa_exception_int_div_zero 0
	.end_amdhsa_kernel
	.section	.text._ZN2at6native31max_unpooling2d_backward_kernelIN3c104HalfEEEvlPKT_PKllllllPS4_,"axG",@progbits,_ZN2at6native31max_unpooling2d_backward_kernelIN3c104HalfEEEvlPKT_PKllllllPS4_,comdat
.Lfunc_end25:
	.size	_ZN2at6native31max_unpooling2d_backward_kernelIN3c104HalfEEEvlPKT_PKllllllPS4_, .Lfunc_end25-_ZN2at6native31max_unpooling2d_backward_kernelIN3c104HalfEEEvlPKT_PKllllllPS4_
                                        ; -- End function
	.section	.AMDGPU.csdata,"",@progbits
; Kernel info:
; codeLenInByte = 3388
; NumSgprs: 34
; NumVgprs: 23
; ScratchSize: 0
; MemoryBound: 0
; FloatMode: 240
; IeeeMode: 1
; LDSByteSize: 0 bytes/workgroup (compile time only)
; SGPRBlocks: 4
; VGPRBlocks: 2
; NumSGPRsForWavesPerEU: 34
; NumVGPRsForWavesPerEU: 23
; Occupancy: 16
; WaveLimiterHint : 1
; COMPUTE_PGM_RSRC2:SCRATCH_EN: 0
; COMPUTE_PGM_RSRC2:USER_SGPR: 15
; COMPUTE_PGM_RSRC2:TRAP_HANDLER: 0
; COMPUTE_PGM_RSRC2:TGID_X_EN: 1
; COMPUTE_PGM_RSRC2:TGID_Y_EN: 0
; COMPUTE_PGM_RSRC2:TGID_Z_EN: 0
; COMPUTE_PGM_RSRC2:TIDIG_COMP_CNT: 0
	.section	.text._ZN2at6native31max_unpooling2d_backward_kernelIN3c108BFloat16EEEvlPKT_PKllllllPS4_,"axG",@progbits,_ZN2at6native31max_unpooling2d_backward_kernelIN3c108BFloat16EEEvlPKT_PKllllllPS4_,comdat
	.protected	_ZN2at6native31max_unpooling2d_backward_kernelIN3c108BFloat16EEEvlPKT_PKllllllPS4_ ; -- Begin function _ZN2at6native31max_unpooling2d_backward_kernelIN3c108BFloat16EEEvlPKT_PKllllllPS4_
	.globl	_ZN2at6native31max_unpooling2d_backward_kernelIN3c108BFloat16EEEvlPKT_PKllllllPS4_
	.p2align	8
	.type	_ZN2at6native31max_unpooling2d_backward_kernelIN3c108BFloat16EEEvlPKT_PKllllllPS4_,@function
_ZN2at6native31max_unpooling2d_backward_kernelIN3c108BFloat16EEEvlPKT_PKllllllPS4_: ; @_ZN2at6native31max_unpooling2d_backward_kernelIN3c108BFloat16EEEvlPKT_PKllllllPS4_
; %bb.0:
	s_clause 0x1
	s_load_b32 s4, s[0:1], 0x54
	s_load_b512 s[16:31], s[0:1], 0x0
	v_mov_b32_e32 v2, 0
	s_add_u32 s2, s0, 0x48
	s_addc_u32 s3, s1, 0
	s_mov_b32 s5, exec_lo
	s_delay_alu instid0(VALU_DEP_1)
	v_mov_b32_e32 v1, v2
	s_waitcnt lgkmcnt(0)
	s_and_b32 s4, s4, 0xffff
	s_delay_alu instid0(VALU_DEP_1) | instid1(SALU_CYCLE_1)
	v_mad_u64_u32 v[4:5], null, s4, s15, v[0:1]
	s_delay_alu instid0(VALU_DEP_1)
	v_cmpx_gt_i64_e64 s[16:17], v[4:5]
	s_cbranch_execz .LBB26_15
; %bb.1:
	v_cvt_f32_u32_e32 v0, s26
	s_load_b32 s5, s[2:3], 0x0
	s_sub_i32 s2, 0, s26
	s_mul_hi_u32 s6, s30, s28
	s_mul_i32 s7, s31, s28
	v_rcp_iflag_f32_e32 v0, v0
	s_mov_b32 s12, 0
	s_waitcnt_depctr 0xfff
	v_dual_mov_b32 v3, v4 :: v_dual_mul_f32 v0, 0x4f7ffffe, v0
	s_delay_alu instid0(VALU_DEP_1)
	v_cvt_u32_f32_e32 v6, v0
	s_waitcnt lgkmcnt(0)
	s_mul_i32 s14, s5, s4
	s_ashr_i32 s4, s27, 31
	s_mov_b32 s15, s14
	v_mul_lo_u32 v0, s2, v6
	s_load_b64 s[2:3], s[0:1], 0x40
	s_mul_i32 s0, s30, s29
	s_mul_i32 s1, s30, s28
	s_add_i32 s0, s6, s0
	s_ashr_i32 s6, s25, 31
	s_add_i32 s13, s0, s7
	s_delay_alu instid0(VALU_DEP_1) | instskip(SKIP_1) | instid1(VALU_DEP_2)
	v_mul_hi_u32 v7, v6, v0
	v_dual_mov_b32 v0, s18 :: v_dual_mov_b32 v1, s19
	v_dual_mov_b32 v7, v3 :: v_dual_add_nc_u32 v14, v6, v7
	v_mov_b32_e32 v6, v2
	s_branch .LBB26_3
.LBB26_2:                               ;   in Loop: Header=BB26_3 Depth=1
	s_or_b32 exec_lo, exec_lo, s0
	v_lshlrev_b64 v[15:16], 3, v[8:9]
	s_delay_alu instid0(VALU_DEP_2)
	v_mul_lo_u32 v11, v12, s22
	v_ashrrev_i32_e32 v13, 31, v12
	v_mul_lo_u32 v17, v12, s23
	v_lshlrev_b64 v[8:9], 1, v[8:9]
	v_add_co_u32 v6, s0, v6, 0
	v_add_co_u32 v15, vcc_lo, s20, v15
	v_add_co_ci_u32_e32 v16, vcc_lo, s21, v16, vcc_lo
	v_sub_nc_u32_e32 v10, v10, v11
	v_mul_lo_u32 v13, v13, s22
	v_add_co_ci_u32_e64 v7, s0, s15, v7, s0
	global_load_b32 v3, v[15:16], off
	v_ashrrev_i32_e32 v11, 31, v10
	s_delay_alu instid0(VALU_DEP_1) | instskip(NEXT) | instid1(VALU_DEP_1)
	v_mad_u64_u32 v[15:16], null, v12, s22, v[10:11]
	v_add3_u32 v12, v13, v16, v17
	s_delay_alu instid0(VALU_DEP_2) | instskip(SKIP_1) | instid1(VALU_DEP_3)
	v_mul_lo_u32 v13, s13, v15
	v_mad_u64_u32 v[10:11], null, s1, v15, 0
	v_mul_lo_u32 v12, s1, v12
	s_delay_alu instid0(VALU_DEP_1) | instskip(NEXT) | instid1(VALU_DEP_1)
	v_add3_u32 v11, v11, v12, v13
	v_lshlrev_b64 v[10:11], 1, v[10:11]
	s_delay_alu instid0(VALU_DEP_1) | instskip(NEXT) | instid1(VALU_DEP_2)
	v_add_co_u32 v0, vcc_lo, v0, v10
	v_add_co_ci_u32_e32 v1, vcc_lo, v1, v11, vcc_lo
	s_waitcnt vmcnt(0)
	v_ashrrev_i64 v[12:13], 31, v[2:3]
	s_delay_alu instid0(VALU_DEP_1) | instskip(NEXT) | instid1(VALU_DEP_2)
	v_add_co_u32 v10, vcc_lo, v0, v12
	v_add_co_ci_u32_e32 v11, vcc_lo, v1, v13, vcc_lo
	v_add_co_u32 v4, vcc_lo, v4, s14
	v_add_co_ci_u32_e32 v5, vcc_lo, 0, v5, vcc_lo
	global_load_u16 v3, v[10:11], off
	s_waitcnt lgkmcnt(0)
	v_add_co_u32 v8, vcc_lo, s2, v8
	v_add_co_ci_u32_e32 v9, vcc_lo, s3, v9, vcc_lo
	v_cmp_le_i64_e32 vcc_lo, s[16:17], v[4:5]
	s_or_b32 s12, vcc_lo, s12
	s_waitcnt vmcnt(0)
	global_store_b16 v[8:9], v3, off
	s_and_not1_b32 exec_lo, exec_lo, s12
	s_cbranch_execz .LBB26_15
.LBB26_3:                               ; =>This Inner Loop Header: Depth=1
	s_delay_alu instid0(VALU_DEP_2) | instskip(SKIP_2) | instid1(VALU_DEP_2)
	v_ashrrev_i32_e32 v9, 31, v7
	v_mov_b32_e32 v8, v7
                                        ; implicit-def: $vgpr12_vgpr13
	s_mov_b32 s0, exec_lo
	v_or_b32_e32 v3, s27, v9
	s_delay_alu instid0(VALU_DEP_1)
	v_cmpx_ne_u64_e32 0, v[2:3]
	s_xor_b32 s7, exec_lo, s0
	s_cbranch_execz .LBB26_5
; %bb.4:                                ;   in Loop: Header=BB26_3 Depth=1
	s_add_u32 s8, s26, s4
	s_mov_b32 s5, s4
	s_addc_u32 s9, s27, s4
	s_delay_alu instid0(SALU_CYCLE_1) | instskip(NEXT) | instid1(SALU_CYCLE_1)
	s_xor_b64 s[8:9], s[8:9], s[4:5]
	v_cvt_f32_u32_e32 v3, s8
	v_cvt_f32_u32_e32 v10, s9
	s_sub_u32 s0, 0, s8
	s_subb_u32 s5, 0, s9
	s_delay_alu instid0(VALU_DEP_1) | instskip(NEXT) | instid1(VALU_DEP_1)
	v_fmac_f32_e32 v3, 0x4f800000, v10
	v_rcp_f32_e32 v3, v3
	s_waitcnt_depctr 0xfff
	v_mul_f32_e32 v3, 0x5f7ffffc, v3
	s_delay_alu instid0(VALU_DEP_1) | instskip(NEXT) | instid1(VALU_DEP_1)
	v_mul_f32_e32 v10, 0x2f800000, v3
	v_trunc_f32_e32 v10, v10
	s_delay_alu instid0(VALU_DEP_1) | instskip(SKIP_1) | instid1(VALU_DEP_2)
	v_fmac_f32_e32 v3, 0xcf800000, v10
	v_cvt_u32_f32_e32 v10, v10
	v_cvt_u32_f32_e32 v3, v3
	s_delay_alu instid0(VALU_DEP_2) | instskip(NEXT) | instid1(VALU_DEP_2)
	v_mul_lo_u32 v11, s0, v10
	v_mul_hi_u32 v12, s0, v3
	v_mul_lo_u32 v13, s5, v3
	s_delay_alu instid0(VALU_DEP_2) | instskip(SKIP_1) | instid1(VALU_DEP_2)
	v_add_nc_u32_e32 v11, v12, v11
	v_mul_lo_u32 v12, s0, v3
	v_add_nc_u32_e32 v11, v11, v13
	s_delay_alu instid0(VALU_DEP_2) | instskip(NEXT) | instid1(VALU_DEP_2)
	v_mul_hi_u32 v13, v3, v12
	v_mul_lo_u32 v15, v3, v11
	v_mul_hi_u32 v16, v3, v11
	v_mul_hi_u32 v17, v10, v12
	v_mul_lo_u32 v12, v10, v12
	v_mul_hi_u32 v18, v10, v11
	v_mul_lo_u32 v11, v10, v11
	v_add_co_u32 v13, vcc_lo, v13, v15
	v_add_co_ci_u32_e32 v15, vcc_lo, 0, v16, vcc_lo
	s_delay_alu instid0(VALU_DEP_2) | instskip(NEXT) | instid1(VALU_DEP_2)
	v_add_co_u32 v12, vcc_lo, v13, v12
	v_add_co_ci_u32_e32 v12, vcc_lo, v15, v17, vcc_lo
	v_add_co_ci_u32_e32 v13, vcc_lo, 0, v18, vcc_lo
	v_ashrrev_i32_e32 v17, 31, v9
	s_delay_alu instid0(VALU_DEP_3) | instskip(NEXT) | instid1(VALU_DEP_3)
	v_add_co_u32 v11, vcc_lo, v12, v11
	v_add_co_ci_u32_e32 v12, vcc_lo, 0, v13, vcc_lo
	s_delay_alu instid0(VALU_DEP_2) | instskip(NEXT) | instid1(VALU_DEP_2)
	v_add_co_u32 v3, vcc_lo, v3, v11
	v_add_co_ci_u32_e32 v10, vcc_lo, v10, v12, vcc_lo
	s_delay_alu instid0(VALU_DEP_2) | instskip(SKIP_1) | instid1(VALU_DEP_3)
	v_mul_hi_u32 v11, s0, v3
	v_mul_lo_u32 v13, s5, v3
	v_mul_lo_u32 v12, s0, v10
	s_delay_alu instid0(VALU_DEP_1) | instskip(SKIP_1) | instid1(VALU_DEP_2)
	v_add_nc_u32_e32 v11, v11, v12
	v_mul_lo_u32 v12, s0, v3
	v_add_nc_u32_e32 v11, v11, v13
	s_delay_alu instid0(VALU_DEP_2) | instskip(NEXT) | instid1(VALU_DEP_2)
	v_mul_hi_u32 v13, v3, v12
	v_mul_lo_u32 v15, v3, v11
	v_mul_hi_u32 v16, v3, v11
	v_mul_hi_u32 v18, v10, v12
	v_mul_lo_u32 v12, v10, v12
	v_mul_hi_u32 v19, v10, v11
	v_mul_lo_u32 v11, v10, v11
	v_add_co_u32 v13, vcc_lo, v13, v15
	v_add_co_ci_u32_e32 v15, vcc_lo, 0, v16, vcc_lo
	s_delay_alu instid0(VALU_DEP_2) | instskip(NEXT) | instid1(VALU_DEP_2)
	v_add_co_u32 v12, vcc_lo, v13, v12
	v_add_co_ci_u32_e32 v12, vcc_lo, v15, v18, vcc_lo
	v_add_co_ci_u32_e32 v13, vcc_lo, 0, v19, vcc_lo
	v_add_co_u32 v15, vcc_lo, v8, v17
	v_add_co_ci_u32_e32 v16, vcc_lo, v9, v17, vcc_lo
	s_delay_alu instid0(VALU_DEP_4) | instskip(NEXT) | instid1(VALU_DEP_4)
	v_add_co_u32 v11, vcc_lo, v12, v11
	v_add_co_ci_u32_e32 v12, vcc_lo, 0, v13, vcc_lo
	s_delay_alu instid0(VALU_DEP_4) | instskip(NEXT) | instid1(VALU_DEP_3)
	v_xor_b32_e32 v18, v15, v17
	v_add_co_u32 v3, vcc_lo, v3, v11
	s_delay_alu instid0(VALU_DEP_3) | instskip(SKIP_1) | instid1(VALU_DEP_3)
	v_add_co_ci_u32_e32 v19, vcc_lo, v10, v12, vcc_lo
	v_xor_b32_e32 v20, v16, v17
	v_mul_hi_u32 v21, v18, v3
	s_delay_alu instid0(VALU_DEP_3) | instskip(NEXT) | instid1(VALU_DEP_3)
	v_mad_u64_u32 v[10:11], null, v18, v19, 0
	v_mad_u64_u32 v[12:13], null, v20, v3, 0
	;; [unrolled: 1-line block ×3, first 2 shown]
	s_delay_alu instid0(VALU_DEP_3) | instskip(NEXT) | instid1(VALU_DEP_4)
	v_add_co_u32 v3, vcc_lo, v21, v10
	v_add_co_ci_u32_e32 v10, vcc_lo, 0, v11, vcc_lo
	s_delay_alu instid0(VALU_DEP_2) | instskip(NEXT) | instid1(VALU_DEP_2)
	v_add_co_u32 v3, vcc_lo, v3, v12
	v_add_co_ci_u32_e32 v3, vcc_lo, v10, v13, vcc_lo
	v_add_co_ci_u32_e32 v10, vcc_lo, 0, v16, vcc_lo
	s_delay_alu instid0(VALU_DEP_2) | instskip(NEXT) | instid1(VALU_DEP_2)
	v_add_co_u32 v3, vcc_lo, v3, v15
	v_add_co_ci_u32_e32 v12, vcc_lo, 0, v10, vcc_lo
	s_delay_alu instid0(VALU_DEP_2) | instskip(SKIP_1) | instid1(VALU_DEP_3)
	v_mul_lo_u32 v13, s9, v3
	v_mad_u64_u32 v[10:11], null, s8, v3, 0
	v_mul_lo_u32 v15, s8, v12
	s_delay_alu instid0(VALU_DEP_2) | instskip(NEXT) | instid1(VALU_DEP_2)
	v_sub_co_u32 v10, vcc_lo, v18, v10
	v_add3_u32 v11, v11, v15, v13
	s_delay_alu instid0(VALU_DEP_1) | instskip(NEXT) | instid1(VALU_DEP_1)
	v_sub_nc_u32_e32 v13, v20, v11
	v_subrev_co_ci_u32_e64 v13, s0, s9, v13, vcc_lo
	v_add_co_u32 v15, s0, v3, 2
	s_delay_alu instid0(VALU_DEP_1) | instskip(SKIP_3) | instid1(VALU_DEP_3)
	v_add_co_ci_u32_e64 v16, s0, 0, v12, s0
	v_sub_co_u32 v18, s0, v10, s8
	v_sub_co_ci_u32_e32 v11, vcc_lo, v20, v11, vcc_lo
	v_subrev_co_ci_u32_e64 v13, s0, 0, v13, s0
	v_cmp_le_u32_e32 vcc_lo, s8, v18
	s_delay_alu instid0(VALU_DEP_3) | instskip(SKIP_1) | instid1(VALU_DEP_4)
	v_cmp_eq_u32_e64 s0, s9, v11
	v_cndmask_b32_e64 v18, 0, -1, vcc_lo
	v_cmp_le_u32_e32 vcc_lo, s9, v13
	v_cndmask_b32_e64 v19, 0, -1, vcc_lo
	v_cmp_le_u32_e32 vcc_lo, s8, v10
	;; [unrolled: 2-line block ×3, first 2 shown]
	v_cndmask_b32_e64 v20, 0, -1, vcc_lo
	v_cmp_eq_u32_e32 vcc_lo, s9, v13
	s_delay_alu instid0(VALU_DEP_2) | instskip(SKIP_3) | instid1(VALU_DEP_3)
	v_cndmask_b32_e64 v10, v20, v10, s0
	v_cndmask_b32_e32 v13, v19, v18, vcc_lo
	v_add_co_u32 v18, vcc_lo, v3, 1
	v_add_co_ci_u32_e32 v19, vcc_lo, 0, v12, vcc_lo
	v_cmp_ne_u32_e32 vcc_lo, 0, v13
	s_delay_alu instid0(VALU_DEP_2) | instskip(NEXT) | instid1(VALU_DEP_4)
	v_cndmask_b32_e32 v11, v19, v16, vcc_lo
	v_cndmask_b32_e32 v13, v18, v15, vcc_lo
	v_cmp_ne_u32_e32 vcc_lo, 0, v10
	v_xor_b32_e32 v10, s4, v17
	s_delay_alu instid0(VALU_DEP_3) | instskip(SKIP_1) | instid1(VALU_DEP_2)
	v_cndmask_b32_e32 v3, v3, v13, vcc_lo
	v_cndmask_b32_e32 v11, v12, v11, vcc_lo
	v_xor_b32_e32 v3, v3, v10
	s_delay_alu instid0(VALU_DEP_2) | instskip(NEXT) | instid1(VALU_DEP_2)
	v_xor_b32_e32 v11, v11, v10
	v_sub_co_u32 v12, vcc_lo, v3, v10
	s_delay_alu instid0(VALU_DEP_2)
	v_sub_co_ci_u32_e32 v13, vcc_lo, v11, v10, vcc_lo
.LBB26_5:                               ;   in Loop: Header=BB26_3 Depth=1
	s_and_not1_saveexec_b32 s0, s7
; %bb.6:                                ;   in Loop: Header=BB26_3 Depth=1
	v_mul_hi_u32 v3, v7, v14
	v_mov_b32_e32 v13, v2
	s_delay_alu instid0(VALU_DEP_2) | instskip(NEXT) | instid1(VALU_DEP_1)
	v_mul_lo_u32 v10, v3, s26
	v_sub_nc_u32_e32 v10, v7, v10
	s_delay_alu instid0(VALU_DEP_1) | instskip(SKIP_1) | instid1(VALU_DEP_2)
	v_subrev_nc_u32_e32 v12, s26, v10
	v_cmp_le_u32_e32 vcc_lo, s26, v10
	v_dual_cndmask_b32 v10, v10, v12 :: v_dual_add_nc_u32 v11, 1, v3
	s_delay_alu instid0(VALU_DEP_1) | instskip(NEXT) | instid1(VALU_DEP_2)
	v_cndmask_b32_e32 v3, v3, v11, vcc_lo
	v_cmp_le_u32_e32 vcc_lo, s26, v10
	s_delay_alu instid0(VALU_DEP_2) | instskip(NEXT) | instid1(VALU_DEP_1)
	v_add_nc_u32_e32 v11, 1, v3
	v_cndmask_b32_e32 v12, v3, v11, vcc_lo
; %bb.7:                                ;   in Loop: Header=BB26_3 Depth=1
	s_or_b32 exec_lo, exec_lo, s0
	v_or_b32_e32 v3, s25, v13
                                        ; implicit-def: $vgpr10_vgpr11
	s_mov_b32 s0, exec_lo
	s_delay_alu instid0(VALU_DEP_1)
	v_cmpx_ne_u64_e32 0, v[2:3]
	s_xor_b32 s5, exec_lo, s0
	s_cbranch_execz .LBB26_9
; %bb.8:                                ;   in Loop: Header=BB26_3 Depth=1
	s_add_u32 s8, s24, s6
	s_mov_b32 s7, s6
	s_addc_u32 s9, s25, s6
	s_delay_alu instid0(SALU_CYCLE_1) | instskip(NEXT) | instid1(SALU_CYCLE_1)
	s_xor_b64 s[8:9], s[8:9], s[6:7]
	v_cvt_f32_u32_e32 v3, s8
	v_cvt_f32_u32_e32 v10, s9
	s_sub_u32 s0, 0, s8
	s_subb_u32 s7, 0, s9
	s_delay_alu instid0(VALU_DEP_1) | instskip(NEXT) | instid1(VALU_DEP_1)
	v_fmac_f32_e32 v3, 0x4f800000, v10
	v_rcp_f32_e32 v3, v3
	s_waitcnt_depctr 0xfff
	v_mul_f32_e32 v3, 0x5f7ffffc, v3
	s_delay_alu instid0(VALU_DEP_1) | instskip(NEXT) | instid1(VALU_DEP_1)
	v_mul_f32_e32 v10, 0x2f800000, v3
	v_trunc_f32_e32 v10, v10
	s_delay_alu instid0(VALU_DEP_1) | instskip(SKIP_1) | instid1(VALU_DEP_2)
	v_fmac_f32_e32 v3, 0xcf800000, v10
	v_cvt_u32_f32_e32 v10, v10
	v_cvt_u32_f32_e32 v3, v3
	s_delay_alu instid0(VALU_DEP_2) | instskip(NEXT) | instid1(VALU_DEP_2)
	v_mul_lo_u32 v11, s0, v10
	v_mul_hi_u32 v15, s0, v3
	v_mul_lo_u32 v16, s7, v3
	s_delay_alu instid0(VALU_DEP_2) | instskip(SKIP_1) | instid1(VALU_DEP_2)
	v_add_nc_u32_e32 v11, v15, v11
	v_mul_lo_u32 v15, s0, v3
	v_add_nc_u32_e32 v11, v11, v16
	s_delay_alu instid0(VALU_DEP_2) | instskip(NEXT) | instid1(VALU_DEP_2)
	v_mul_hi_u32 v16, v3, v15
	v_mul_lo_u32 v17, v3, v11
	v_mul_hi_u32 v18, v3, v11
	v_mul_hi_u32 v19, v10, v15
	v_mul_lo_u32 v15, v10, v15
	v_mul_hi_u32 v20, v10, v11
	v_mul_lo_u32 v11, v10, v11
	v_add_co_u32 v16, vcc_lo, v16, v17
	v_add_co_ci_u32_e32 v17, vcc_lo, 0, v18, vcc_lo
	s_delay_alu instid0(VALU_DEP_2) | instskip(NEXT) | instid1(VALU_DEP_2)
	v_add_co_u32 v15, vcc_lo, v16, v15
	v_add_co_ci_u32_e32 v15, vcc_lo, v17, v19, vcc_lo
	v_add_co_ci_u32_e32 v16, vcc_lo, 0, v20, vcc_lo
	v_ashrrev_i32_e32 v19, 31, v13
	s_delay_alu instid0(VALU_DEP_3) | instskip(NEXT) | instid1(VALU_DEP_3)
	v_add_co_u32 v11, vcc_lo, v15, v11
	v_add_co_ci_u32_e32 v15, vcc_lo, 0, v16, vcc_lo
	s_delay_alu instid0(VALU_DEP_2) | instskip(NEXT) | instid1(VALU_DEP_2)
	v_add_co_u32 v3, vcc_lo, v3, v11
	v_add_co_ci_u32_e32 v10, vcc_lo, v10, v15, vcc_lo
	s_delay_alu instid0(VALU_DEP_2) | instskip(SKIP_1) | instid1(VALU_DEP_3)
	v_mul_hi_u32 v11, s0, v3
	v_mul_lo_u32 v16, s7, v3
	v_mul_lo_u32 v15, s0, v10
	s_delay_alu instid0(VALU_DEP_1) | instskip(SKIP_1) | instid1(VALU_DEP_2)
	v_add_nc_u32_e32 v11, v11, v15
	v_mul_lo_u32 v15, s0, v3
	v_add_nc_u32_e32 v11, v11, v16
	s_delay_alu instid0(VALU_DEP_2) | instskip(NEXT) | instid1(VALU_DEP_2)
	v_mul_hi_u32 v16, v3, v15
	v_mul_lo_u32 v17, v3, v11
	v_mul_hi_u32 v18, v3, v11
	v_mul_hi_u32 v20, v10, v15
	v_mul_lo_u32 v15, v10, v15
	v_mul_hi_u32 v21, v10, v11
	v_mul_lo_u32 v11, v10, v11
	v_add_co_u32 v16, vcc_lo, v16, v17
	v_add_co_ci_u32_e32 v17, vcc_lo, 0, v18, vcc_lo
	s_delay_alu instid0(VALU_DEP_2) | instskip(NEXT) | instid1(VALU_DEP_2)
	v_add_co_u32 v15, vcc_lo, v16, v15
	v_add_co_ci_u32_e32 v15, vcc_lo, v17, v20, vcc_lo
	v_add_co_ci_u32_e32 v16, vcc_lo, 0, v21, vcc_lo
	v_add_co_u32 v12, vcc_lo, v12, v19
	v_add_co_ci_u32_e32 v13, vcc_lo, v13, v19, vcc_lo
	s_delay_alu instid0(VALU_DEP_4) | instskip(NEXT) | instid1(VALU_DEP_4)
	v_add_co_u32 v11, vcc_lo, v15, v11
	v_add_co_ci_u32_e32 v15, vcc_lo, 0, v16, vcc_lo
	s_delay_alu instid0(VALU_DEP_4) | instskip(NEXT) | instid1(VALU_DEP_3)
	v_xor_b32_e32 v17, v12, v19
	v_add_co_u32 v3, vcc_lo, v3, v11
	s_delay_alu instid0(VALU_DEP_3) | instskip(SKIP_1) | instid1(VALU_DEP_3)
	v_add_co_ci_u32_e32 v18, vcc_lo, v10, v15, vcc_lo
	v_xor_b32_e32 v20, v13, v19
	v_mul_hi_u32 v21, v17, v3
	s_delay_alu instid0(VALU_DEP_3) | instskip(NEXT) | instid1(VALU_DEP_3)
	v_mad_u64_u32 v[10:11], null, v17, v18, 0
	v_mad_u64_u32 v[12:13], null, v20, v3, 0
	v_mad_u64_u32 v[15:16], null, v20, v18, 0
	s_delay_alu instid0(VALU_DEP_3) | instskip(NEXT) | instid1(VALU_DEP_4)
	v_add_co_u32 v3, vcc_lo, v21, v10
	v_add_co_ci_u32_e32 v10, vcc_lo, 0, v11, vcc_lo
	s_delay_alu instid0(VALU_DEP_2) | instskip(NEXT) | instid1(VALU_DEP_2)
	v_add_co_u32 v3, vcc_lo, v3, v12
	v_add_co_ci_u32_e32 v3, vcc_lo, v10, v13, vcc_lo
	v_add_co_ci_u32_e32 v10, vcc_lo, 0, v16, vcc_lo
	s_delay_alu instid0(VALU_DEP_2) | instskip(NEXT) | instid1(VALU_DEP_2)
	v_add_co_u32 v3, vcc_lo, v3, v15
	v_add_co_ci_u32_e32 v12, vcc_lo, 0, v10, vcc_lo
	s_delay_alu instid0(VALU_DEP_2) | instskip(SKIP_1) | instid1(VALU_DEP_3)
	v_mul_lo_u32 v13, s9, v3
	v_mad_u64_u32 v[10:11], null, s8, v3, 0
	v_mul_lo_u32 v15, s8, v12
	s_delay_alu instid0(VALU_DEP_2) | instskip(NEXT) | instid1(VALU_DEP_2)
	v_sub_co_u32 v10, vcc_lo, v17, v10
	v_add3_u32 v11, v11, v15, v13
	s_delay_alu instid0(VALU_DEP_1) | instskip(NEXT) | instid1(VALU_DEP_1)
	v_sub_nc_u32_e32 v13, v20, v11
	v_subrev_co_ci_u32_e64 v13, s0, s9, v13, vcc_lo
	v_add_co_u32 v15, s0, v3, 2
	s_delay_alu instid0(VALU_DEP_1) | instskip(SKIP_3) | instid1(VALU_DEP_3)
	v_add_co_ci_u32_e64 v16, s0, 0, v12, s0
	v_sub_co_u32 v17, s0, v10, s8
	v_sub_co_ci_u32_e32 v11, vcc_lo, v20, v11, vcc_lo
	v_subrev_co_ci_u32_e64 v13, s0, 0, v13, s0
	v_cmp_le_u32_e32 vcc_lo, s8, v17
	s_delay_alu instid0(VALU_DEP_3) | instskip(SKIP_1) | instid1(VALU_DEP_4)
	v_cmp_eq_u32_e64 s0, s9, v11
	v_cndmask_b32_e64 v17, 0, -1, vcc_lo
	v_cmp_le_u32_e32 vcc_lo, s9, v13
	v_cndmask_b32_e64 v18, 0, -1, vcc_lo
	v_cmp_le_u32_e32 vcc_lo, s8, v10
	;; [unrolled: 2-line block ×3, first 2 shown]
	v_cndmask_b32_e64 v20, 0, -1, vcc_lo
	v_cmp_eq_u32_e32 vcc_lo, s9, v13
	s_delay_alu instid0(VALU_DEP_2) | instskip(SKIP_3) | instid1(VALU_DEP_3)
	v_cndmask_b32_e64 v10, v20, v10, s0
	v_cndmask_b32_e32 v13, v18, v17, vcc_lo
	v_add_co_u32 v17, vcc_lo, v3, 1
	v_add_co_ci_u32_e32 v18, vcc_lo, 0, v12, vcc_lo
	v_cmp_ne_u32_e32 vcc_lo, 0, v13
	s_delay_alu instid0(VALU_DEP_2) | instskip(NEXT) | instid1(VALU_DEP_4)
	v_cndmask_b32_e32 v11, v18, v16, vcc_lo
	v_cndmask_b32_e32 v13, v17, v15, vcc_lo
	v_cmp_ne_u32_e32 vcc_lo, 0, v10
	v_xor_b32_e32 v15, s6, v19
	s_delay_alu instid0(VALU_DEP_3) | instskip(NEXT) | instid1(VALU_DEP_1)
	v_dual_cndmask_b32 v3, v3, v13 :: v_dual_cndmask_b32 v10, v12, v11
                                        ; implicit-def: $vgpr12_vgpr13
	v_xor_b32_e32 v3, v3, v15
	s_delay_alu instid0(VALU_DEP_2) | instskip(NEXT) | instid1(VALU_DEP_2)
	v_xor_b32_e32 v11, v10, v15
	v_sub_co_u32 v10, vcc_lo, v3, v15
	s_delay_alu instid0(VALU_DEP_2)
	v_sub_co_ci_u32_e32 v11, vcc_lo, v11, v15, vcc_lo
.LBB26_9:                               ;   in Loop: Header=BB26_3 Depth=1
	s_and_not1_saveexec_b32 s0, s5
	s_cbranch_execz .LBB26_11
; %bb.10:                               ;   in Loop: Header=BB26_3 Depth=1
	v_cvt_f32_u32_e32 v3, s24
	s_sub_i32 s5, 0, s24
	s_delay_alu instid0(VALU_DEP_1) | instskip(SKIP_2) | instid1(VALU_DEP_1)
	v_rcp_iflag_f32_e32 v3, v3
	s_waitcnt_depctr 0xfff
	v_mul_f32_e32 v3, 0x4f7ffffe, v3
	v_cvt_u32_f32_e32 v3, v3
	s_delay_alu instid0(VALU_DEP_1) | instskip(NEXT) | instid1(VALU_DEP_1)
	v_mul_lo_u32 v10, s5, v3
	v_mul_hi_u32 v10, v3, v10
	s_delay_alu instid0(VALU_DEP_1) | instskip(NEXT) | instid1(VALU_DEP_1)
	v_add_nc_u32_e32 v3, v3, v10
	v_mul_hi_u32 v3, v12, v3
	s_delay_alu instid0(VALU_DEP_1) | instskip(SKIP_1) | instid1(VALU_DEP_2)
	v_mul_lo_u32 v10, v3, s24
	v_add_nc_u32_e32 v11, 1, v3
	v_sub_nc_u32_e32 v10, v12, v10
	s_delay_alu instid0(VALU_DEP_1) | instskip(SKIP_1) | instid1(VALU_DEP_2)
	v_subrev_nc_u32_e32 v12, s24, v10
	v_cmp_le_u32_e32 vcc_lo, s24, v10
	v_dual_cndmask_b32 v10, v10, v12 :: v_dual_cndmask_b32 v3, v3, v11
	s_delay_alu instid0(VALU_DEP_1) | instskip(NEXT) | instid1(VALU_DEP_2)
	v_cmp_le_u32_e32 vcc_lo, s24, v10
	v_add_nc_u32_e32 v11, 1, v3
	s_delay_alu instid0(VALU_DEP_1)
	v_dual_cndmask_b32 v10, v3, v11 :: v_dual_mov_b32 v11, v2
.LBB26_11:                              ;   in Loop: Header=BB26_3 Depth=1
	s_or_b32 exec_lo, exec_lo, s0
	s_delay_alu instid0(VALU_DEP_1) | instskip(SKIP_1) | instid1(VALU_DEP_1)
	v_or_b32_e32 v3, s23, v11
                                        ; implicit-def: $vgpr12_vgpr13
	s_mov_b32 s0, exec_lo
	v_cmpx_ne_u64_e32 0, v[2:3]
	s_xor_b32 s5, exec_lo, s0
	s_cbranch_execz .LBB26_13
; %bb.12:                               ;   in Loop: Header=BB26_3 Depth=1
	s_ashr_i32 s8, s23, 31
	s_delay_alu instid0(SALU_CYCLE_1) | instskip(SKIP_2) | instid1(SALU_CYCLE_1)
	s_add_u32 s10, s22, s8
	s_mov_b32 s9, s8
	s_addc_u32 s11, s23, s8
	s_xor_b64 s[10:11], s[10:11], s[8:9]
	s_delay_alu instid0(SALU_CYCLE_1) | instskip(SKIP_3) | instid1(VALU_DEP_1)
	v_cvt_f32_u32_e32 v3, s10
	v_cvt_f32_u32_e32 v12, s11
	s_sub_u32 s0, 0, s10
	s_subb_u32 s7, 0, s11
	v_fmac_f32_e32 v3, 0x4f800000, v12
	s_delay_alu instid0(VALU_DEP_1) | instskip(SKIP_2) | instid1(VALU_DEP_1)
	v_rcp_f32_e32 v3, v3
	s_waitcnt_depctr 0xfff
	v_mul_f32_e32 v3, 0x5f7ffffc, v3
	v_mul_f32_e32 v12, 0x2f800000, v3
	s_delay_alu instid0(VALU_DEP_1) | instskip(NEXT) | instid1(VALU_DEP_1)
	v_trunc_f32_e32 v12, v12
	v_fmac_f32_e32 v3, 0xcf800000, v12
	v_cvt_u32_f32_e32 v12, v12
	s_delay_alu instid0(VALU_DEP_2) | instskip(NEXT) | instid1(VALU_DEP_2)
	v_cvt_u32_f32_e32 v3, v3
	v_mul_lo_u32 v13, s0, v12
	s_delay_alu instid0(VALU_DEP_2) | instskip(SKIP_1) | instid1(VALU_DEP_2)
	v_mul_hi_u32 v15, s0, v3
	v_mul_lo_u32 v16, s7, v3
	v_add_nc_u32_e32 v13, v15, v13
	v_mul_lo_u32 v15, s0, v3
	s_delay_alu instid0(VALU_DEP_2) | instskip(NEXT) | instid1(VALU_DEP_2)
	v_add_nc_u32_e32 v13, v13, v16
	v_mul_hi_u32 v16, v3, v15
	s_delay_alu instid0(VALU_DEP_2)
	v_mul_lo_u32 v17, v3, v13
	v_mul_hi_u32 v18, v3, v13
	v_mul_hi_u32 v19, v12, v15
	v_mul_lo_u32 v15, v12, v15
	v_mul_hi_u32 v20, v12, v13
	v_mul_lo_u32 v13, v12, v13
	v_add_co_u32 v16, vcc_lo, v16, v17
	v_add_co_ci_u32_e32 v17, vcc_lo, 0, v18, vcc_lo
	s_delay_alu instid0(VALU_DEP_2) | instskip(NEXT) | instid1(VALU_DEP_2)
	v_add_co_u32 v15, vcc_lo, v16, v15
	v_add_co_ci_u32_e32 v15, vcc_lo, v17, v19, vcc_lo
	v_add_co_ci_u32_e32 v16, vcc_lo, 0, v20, vcc_lo
	v_ashrrev_i32_e32 v19, 31, v11
	s_delay_alu instid0(VALU_DEP_3) | instskip(NEXT) | instid1(VALU_DEP_3)
	v_add_co_u32 v13, vcc_lo, v15, v13
	v_add_co_ci_u32_e32 v15, vcc_lo, 0, v16, vcc_lo
	s_delay_alu instid0(VALU_DEP_2) | instskip(NEXT) | instid1(VALU_DEP_2)
	v_add_co_u32 v3, vcc_lo, v3, v13
	v_add_co_ci_u32_e32 v12, vcc_lo, v12, v15, vcc_lo
	s_delay_alu instid0(VALU_DEP_2) | instskip(SKIP_1) | instid1(VALU_DEP_3)
	v_mul_hi_u32 v13, s0, v3
	v_mul_lo_u32 v16, s7, v3
	v_mul_lo_u32 v15, s0, v12
	s_delay_alu instid0(VALU_DEP_1) | instskip(SKIP_1) | instid1(VALU_DEP_2)
	v_add_nc_u32_e32 v13, v13, v15
	v_mul_lo_u32 v15, s0, v3
	v_add_nc_u32_e32 v13, v13, v16
	s_delay_alu instid0(VALU_DEP_2) | instskip(NEXT) | instid1(VALU_DEP_2)
	v_mul_hi_u32 v16, v3, v15
	v_mul_lo_u32 v17, v3, v13
	v_mul_hi_u32 v18, v3, v13
	v_mul_hi_u32 v20, v12, v15
	v_mul_lo_u32 v15, v12, v15
	v_mul_hi_u32 v21, v12, v13
	v_mul_lo_u32 v13, v12, v13
	v_add_co_u32 v16, vcc_lo, v16, v17
	v_add_co_ci_u32_e32 v17, vcc_lo, 0, v18, vcc_lo
	s_delay_alu instid0(VALU_DEP_2) | instskip(NEXT) | instid1(VALU_DEP_2)
	v_add_co_u32 v15, vcc_lo, v16, v15
	v_add_co_ci_u32_e32 v15, vcc_lo, v17, v20, vcc_lo
	v_add_co_ci_u32_e32 v16, vcc_lo, 0, v21, vcc_lo
	v_add_co_u32 v17, vcc_lo, v10, v19
	v_add_co_ci_u32_e32 v11, vcc_lo, v11, v19, vcc_lo
	s_delay_alu instid0(VALU_DEP_4) | instskip(NEXT) | instid1(VALU_DEP_4)
	v_add_co_u32 v13, vcc_lo, v15, v13
	v_add_co_ci_u32_e32 v15, vcc_lo, 0, v16, vcc_lo
	s_delay_alu instid0(VALU_DEP_4) | instskip(NEXT) | instid1(VALU_DEP_3)
	v_xor_b32_e32 v20, v17, v19
	v_add_co_u32 v3, vcc_lo, v3, v13
	s_delay_alu instid0(VALU_DEP_3) | instskip(SKIP_1) | instid1(VALU_DEP_3)
	v_add_co_ci_u32_e32 v13, vcc_lo, v12, v15, vcc_lo
	v_xor_b32_e32 v21, v11, v19
	v_mul_hi_u32 v22, v20, v3
	s_delay_alu instid0(VALU_DEP_3) | instskip(NEXT) | instid1(VALU_DEP_3)
	v_mad_u64_u32 v[11:12], null, v20, v13, 0
	v_mad_u64_u32 v[15:16], null, v21, v3, 0
	;; [unrolled: 1-line block ×3, first 2 shown]
	s_delay_alu instid0(VALU_DEP_3) | instskip(NEXT) | instid1(VALU_DEP_4)
	v_add_co_u32 v3, vcc_lo, v22, v11
	v_add_co_ci_u32_e32 v11, vcc_lo, 0, v12, vcc_lo
	s_delay_alu instid0(VALU_DEP_2) | instskip(NEXT) | instid1(VALU_DEP_2)
	v_add_co_u32 v3, vcc_lo, v3, v15
	v_add_co_ci_u32_e32 v3, vcc_lo, v11, v16, vcc_lo
	v_add_co_ci_u32_e32 v11, vcc_lo, 0, v18, vcc_lo
	s_delay_alu instid0(VALU_DEP_2) | instskip(NEXT) | instid1(VALU_DEP_2)
	v_add_co_u32 v3, vcc_lo, v3, v17
	v_add_co_ci_u32_e32 v13, vcc_lo, 0, v11, vcc_lo
	s_delay_alu instid0(VALU_DEP_2) | instskip(SKIP_1) | instid1(VALU_DEP_3)
	v_mul_lo_u32 v15, s11, v3
	v_mad_u64_u32 v[11:12], null, s10, v3, 0
	v_mul_lo_u32 v13, s10, v13
	s_delay_alu instid0(VALU_DEP_2) | instskip(NEXT) | instid1(VALU_DEP_2)
	v_sub_co_u32 v11, vcc_lo, v20, v11
	v_add3_u32 v12, v12, v13, v15
	v_add_co_u32 v15, s0, v3, 2
	s_delay_alu instid0(VALU_DEP_2) | instskip(NEXT) | instid1(VALU_DEP_1)
	v_sub_nc_u32_e32 v13, v21, v12
	v_subrev_co_ci_u32_e64 v13, s0, s11, v13, vcc_lo
	v_sub_co_u32 v16, s0, v11, s10
	v_sub_co_ci_u32_e32 v12, vcc_lo, v21, v12, vcc_lo
	s_delay_alu instid0(VALU_DEP_3) | instskip(NEXT) | instid1(VALU_DEP_3)
	v_subrev_co_ci_u32_e64 v13, s0, 0, v13, s0
	v_cmp_le_u32_e32 vcc_lo, s10, v16
	v_cndmask_b32_e64 v16, 0, -1, vcc_lo
	s_delay_alu instid0(VALU_DEP_3)
	v_cmp_le_u32_e32 vcc_lo, s11, v13
	v_cndmask_b32_e64 v17, 0, -1, vcc_lo
	v_cmp_le_u32_e32 vcc_lo, s10, v11
	v_cndmask_b32_e64 v11, 0, -1, vcc_lo
	;; [unrolled: 2-line block ×3, first 2 shown]
	v_cmp_eq_u32_e32 vcc_lo, s11, v13
	v_cndmask_b32_e32 v13, v17, v16, vcc_lo
	v_add_co_u32 v16, vcc_lo, v3, 1
	v_cmp_eq_u32_e32 vcc_lo, s11, v12
	v_cndmask_b32_e32 v11, v18, v11, vcc_lo
	s_delay_alu instid0(VALU_DEP_4) | instskip(NEXT) | instid1(VALU_DEP_4)
	v_cmp_ne_u32_e32 vcc_lo, 0, v13
	v_cndmask_b32_e32 v12, v16, v15, vcc_lo
	s_delay_alu instid0(VALU_DEP_3) | instskip(SKIP_1) | instid1(VALU_DEP_3)
	v_cmp_ne_u32_e32 vcc_lo, 0, v11
	v_xor_b32_e32 v11, s8, v19
	v_cndmask_b32_e32 v3, v3, v12, vcc_lo
	s_delay_alu instid0(VALU_DEP_1) | instskip(NEXT) | instid1(VALU_DEP_1)
	v_xor_b32_e32 v3, v3, v11
	v_sub_co_u32 v12, vcc_lo, v3, v11
.LBB26_13:                              ;   in Loop: Header=BB26_3 Depth=1
	s_and_not1_saveexec_b32 s0, s5
	s_cbranch_execz .LBB26_2
; %bb.14:                               ;   in Loop: Header=BB26_3 Depth=1
	v_cvt_f32_u32_e32 v3, s22
	s_sub_i32 s5, 0, s22
	s_delay_alu instid0(VALU_DEP_1) | instskip(SKIP_2) | instid1(VALU_DEP_1)
	v_rcp_iflag_f32_e32 v3, v3
	s_waitcnt_depctr 0xfff
	v_mul_f32_e32 v3, 0x4f7ffffe, v3
	v_cvt_u32_f32_e32 v3, v3
	s_delay_alu instid0(VALU_DEP_1) | instskip(NEXT) | instid1(VALU_DEP_1)
	v_mul_lo_u32 v11, s5, v3
	v_mul_hi_u32 v11, v3, v11
	s_delay_alu instid0(VALU_DEP_1) | instskip(NEXT) | instid1(VALU_DEP_1)
	v_add_nc_u32_e32 v3, v3, v11
	v_mul_hi_u32 v3, v10, v3
	s_delay_alu instid0(VALU_DEP_1) | instskip(NEXT) | instid1(VALU_DEP_1)
	v_mul_lo_u32 v11, v3, s22
	v_sub_nc_u32_e32 v11, v10, v11
	s_delay_alu instid0(VALU_DEP_1) | instskip(SKIP_1) | instid1(VALU_DEP_2)
	v_subrev_nc_u32_e32 v13, s22, v11
	v_cmp_le_u32_e32 vcc_lo, s22, v11
	v_dual_cndmask_b32 v11, v11, v13 :: v_dual_add_nc_u32 v12, 1, v3
	s_delay_alu instid0(VALU_DEP_1) | instskip(NEXT) | instid1(VALU_DEP_2)
	v_cndmask_b32_e32 v3, v3, v12, vcc_lo
	v_cmp_le_u32_e32 vcc_lo, s22, v11
	s_delay_alu instid0(VALU_DEP_2) | instskip(NEXT) | instid1(VALU_DEP_1)
	v_add_nc_u32_e32 v12, 1, v3
	v_cndmask_b32_e32 v12, v3, v12, vcc_lo
	s_branch .LBB26_2
.LBB26_15:
	s_nop 0
	s_sendmsg sendmsg(MSG_DEALLOC_VGPRS)
	s_endpgm
	.section	.rodata,"a",@progbits
	.p2align	6, 0x0
	.amdhsa_kernel _ZN2at6native31max_unpooling2d_backward_kernelIN3c108BFloat16EEEvlPKT_PKllllllPS4_
		.amdhsa_group_segment_fixed_size 0
		.amdhsa_private_segment_fixed_size 0
		.amdhsa_kernarg_size 328
		.amdhsa_user_sgpr_count 15
		.amdhsa_user_sgpr_dispatch_ptr 0
		.amdhsa_user_sgpr_queue_ptr 0
		.amdhsa_user_sgpr_kernarg_segment_ptr 1
		.amdhsa_user_sgpr_dispatch_id 0
		.amdhsa_user_sgpr_private_segment_size 0
		.amdhsa_wavefront_size32 1
		.amdhsa_uses_dynamic_stack 0
		.amdhsa_enable_private_segment 0
		.amdhsa_system_sgpr_workgroup_id_x 1
		.amdhsa_system_sgpr_workgroup_id_y 0
		.amdhsa_system_sgpr_workgroup_id_z 0
		.amdhsa_system_sgpr_workgroup_info 0
		.amdhsa_system_vgpr_workitem_id 0
		.amdhsa_next_free_vgpr 23
		.amdhsa_next_free_sgpr 32
		.amdhsa_reserve_vcc 1
		.amdhsa_float_round_mode_32 0
		.amdhsa_float_round_mode_16_64 0
		.amdhsa_float_denorm_mode_32 3
		.amdhsa_float_denorm_mode_16_64 3
		.amdhsa_dx10_clamp 1
		.amdhsa_ieee_mode 1
		.amdhsa_fp16_overflow 0
		.amdhsa_workgroup_processor_mode 1
		.amdhsa_memory_ordered 1
		.amdhsa_forward_progress 0
		.amdhsa_shared_vgpr_count 0
		.amdhsa_exception_fp_ieee_invalid_op 0
		.amdhsa_exception_fp_denorm_src 0
		.amdhsa_exception_fp_ieee_div_zero 0
		.amdhsa_exception_fp_ieee_overflow 0
		.amdhsa_exception_fp_ieee_underflow 0
		.amdhsa_exception_fp_ieee_inexact 0
		.amdhsa_exception_int_div_zero 0
	.end_amdhsa_kernel
	.section	.text._ZN2at6native31max_unpooling2d_backward_kernelIN3c108BFloat16EEEvlPKT_PKllllllPS4_,"axG",@progbits,_ZN2at6native31max_unpooling2d_backward_kernelIN3c108BFloat16EEEvlPKT_PKllllllPS4_,comdat
.Lfunc_end26:
	.size	_ZN2at6native31max_unpooling2d_backward_kernelIN3c108BFloat16EEEvlPKT_PKllllllPS4_, .Lfunc_end26-_ZN2at6native31max_unpooling2d_backward_kernelIN3c108BFloat16EEEvlPKT_PKllllllPS4_
                                        ; -- End function
	.section	.AMDGPU.csdata,"",@progbits
; Kernel info:
; codeLenInByte = 3388
; NumSgprs: 34
; NumVgprs: 23
; ScratchSize: 0
; MemoryBound: 0
; FloatMode: 240
; IeeeMode: 1
; LDSByteSize: 0 bytes/workgroup (compile time only)
; SGPRBlocks: 4
; VGPRBlocks: 2
; NumSGPRsForWavesPerEU: 34
; NumVGPRsForWavesPerEU: 23
; Occupancy: 16
; WaveLimiterHint : 1
; COMPUTE_PGM_RSRC2:SCRATCH_EN: 0
; COMPUTE_PGM_RSRC2:USER_SGPR: 15
; COMPUTE_PGM_RSRC2:TRAP_HANDLER: 0
; COMPUTE_PGM_RSRC2:TGID_X_EN: 1
; COMPUTE_PGM_RSRC2:TGID_Y_EN: 0
; COMPUTE_PGM_RSRC2:TGID_Z_EN: 0
; COMPUTE_PGM_RSRC2:TIDIG_COMP_CNT: 0
	.section	.text._ZN2at6native31max_unpooling3d_backward_kernelIhEEvPKT_lllN5torch10headeronly6detail27GenericPackedTensorAccessorINS7_14TensorAccessorIN3c108ArrayRefIlEElLm3ENS6_16DefaultPtrTraitsElEENS_6detail16IndexBoundsCheckILm4ElEElLm4ESD_lEENS8_INS9_ISC_S2_Lm3ESD_lEESH_S2_Lm4ESD_lEEi,"axG",@progbits,_ZN2at6native31max_unpooling3d_backward_kernelIhEEvPKT_lllN5torch10headeronly6detail27GenericPackedTensorAccessorINS7_14TensorAccessorIN3c108ArrayRefIlEElLm3ENS6_16DefaultPtrTraitsElEENS_6detail16IndexBoundsCheckILm4ElEElLm4ESD_lEENS8_INS9_ISC_S2_Lm3ESD_lEESH_S2_Lm4ESD_lEEi,comdat
	.protected	_ZN2at6native31max_unpooling3d_backward_kernelIhEEvPKT_lllN5torch10headeronly6detail27GenericPackedTensorAccessorINS7_14TensorAccessorIN3c108ArrayRefIlEElLm3ENS6_16DefaultPtrTraitsElEENS_6detail16IndexBoundsCheckILm4ElEElLm4ESD_lEENS8_INS9_ISC_S2_Lm3ESD_lEESH_S2_Lm4ESD_lEEi ; -- Begin function _ZN2at6native31max_unpooling3d_backward_kernelIhEEvPKT_lllN5torch10headeronly6detail27GenericPackedTensorAccessorINS7_14TensorAccessorIN3c108ArrayRefIlEElLm3ENS6_16DefaultPtrTraitsElEENS_6detail16IndexBoundsCheckILm4ElEElLm4ESD_lEENS8_INS9_ISC_S2_Lm3ESD_lEESH_S2_Lm4ESD_lEEi
	.globl	_ZN2at6native31max_unpooling3d_backward_kernelIhEEvPKT_lllN5torch10headeronly6detail27GenericPackedTensorAccessorINS7_14TensorAccessorIN3c108ArrayRefIlEElLm3ENS6_16DefaultPtrTraitsElEENS_6detail16IndexBoundsCheckILm4ElEElLm4ESD_lEENS8_INS9_ISC_S2_Lm3ESD_lEESH_S2_Lm4ESD_lEEi
	.p2align	8
	.type	_ZN2at6native31max_unpooling3d_backward_kernelIhEEvPKT_lllN5torch10headeronly6detail27GenericPackedTensorAccessorINS7_14TensorAccessorIN3c108ArrayRefIlEElLm3ENS6_16DefaultPtrTraitsElEENS_6detail16IndexBoundsCheckILm4ElEElLm4ESD_lEENS8_INS9_ISC_S2_Lm3ESD_lEESH_S2_Lm4ESD_lEEi,@function
_ZN2at6native31max_unpooling3d_backward_kernelIhEEvPKT_lllN5torch10headeronly6detail27GenericPackedTensorAccessorINS7_14TensorAccessorIN3c108ArrayRefIlEElLm3ENS6_16DefaultPtrTraitsElEENS_6detail16IndexBoundsCheckILm4ElEElLm4ESD_lEENS8_INS9_ISC_S2_Lm3ESD_lEESH_S2_Lm4ESD_lEEi: ; @_ZN2at6native31max_unpooling3d_backward_kernelIhEEvPKT_lllN5torch10headeronly6detail27GenericPackedTensorAccessorINS7_14TensorAccessorIN3c108ArrayRefIlEElLm3ENS6_16DefaultPtrTraitsElEENS_6detail16IndexBoundsCheckILm4ElEElLm4ESD_lEENS8_INS9_ISC_S2_Lm3ESD_lEESH_S2_Lm4ESD_lEEi
; %bb.0:
	s_clause 0x2
	s_load_b64 s[2:3], s[0:1], 0x78
	s_load_b32 s8, s[0:1], 0xb0
	s_load_b32 s18, s[0:1], 0xc4
	s_add_u32 s4, s0, 0xb8
	s_mov_b32 s6, 0
	s_addc_u32 s5, s1, 0
	s_waitcnt lgkmcnt(0)
	s_mov_b32 s7, s3
	s_add_i32 s12, s15, s8
	s_cmp_lg_u64 s[6:7], 0
	s_cbranch_scc0 .LBB27_7
; %bb.1:
	s_ashr_i32 s8, s3, 31
	s_delay_alu instid0(SALU_CYCLE_1) | instskip(SKIP_2) | instid1(SALU_CYCLE_1)
	s_add_u32 s10, s2, s8
	s_mov_b32 s9, s8
	s_addc_u32 s11, s3, s8
	s_xor_b64 s[10:11], s[10:11], s[8:9]
	s_delay_alu instid0(SALU_CYCLE_1) | instskip(SKIP_3) | instid1(VALU_DEP_1)
	v_cvt_f32_u32_e32 v1, s10
	v_cvt_f32_u32_e32 v2, s11
	s_sub_u32 s15, 0, s10
	s_subb_u32 s16, 0, s11
	v_fmamk_f32 v1, v2, 0x4f800000, v1
	s_delay_alu instid0(VALU_DEP_1) | instskip(SKIP_2) | instid1(VALU_DEP_1)
	v_rcp_f32_e32 v1, v1
	s_waitcnt_depctr 0xfff
	v_mul_f32_e32 v1, 0x5f7ffffc, v1
	v_mul_f32_e32 v2, 0x2f800000, v1
	s_delay_alu instid0(VALU_DEP_1) | instskip(NEXT) | instid1(VALU_DEP_1)
	v_trunc_f32_e32 v2, v2
	v_fmamk_f32 v1, v2, 0xcf800000, v1
	v_cvt_u32_f32_e32 v2, v2
	s_delay_alu instid0(VALU_DEP_2) | instskip(NEXT) | instid1(VALU_DEP_2)
	v_cvt_u32_f32_e32 v1, v1
	v_readfirstlane_b32 s3, v2
	s_delay_alu instid0(VALU_DEP_2) | instskip(NEXT) | instid1(VALU_DEP_2)
	v_readfirstlane_b32 s7, v1
	s_mul_i32 s17, s15, s3
	s_delay_alu instid0(VALU_DEP_1)
	s_mul_hi_u32 s20, s15, s7
	s_mul_i32 s19, s16, s7
	s_add_i32 s17, s20, s17
	s_mul_i32 s21, s15, s7
	s_add_i32 s17, s17, s19
	s_mul_hi_u32 s20, s7, s21
	s_mul_hi_u32 s22, s3, s21
	s_mul_i32 s19, s3, s21
	s_mul_hi_u32 s21, s7, s17
	s_mul_i32 s7, s7, s17
	s_mul_hi_u32 s23, s3, s17
	s_add_u32 s7, s20, s7
	s_addc_u32 s20, 0, s21
	s_add_u32 s7, s7, s19
	s_mul_i32 s17, s3, s17
	s_addc_u32 s7, s20, s22
	s_addc_u32 s19, s23, 0
	s_add_u32 s7, s7, s17
	s_addc_u32 s17, 0, s19
	v_add_co_u32 v1, s7, v1, s7
	s_delay_alu instid0(VALU_DEP_1) | instskip(SKIP_1) | instid1(VALU_DEP_1)
	s_cmp_lg_u32 s7, 0
	s_addc_u32 s3, s3, s17
	v_readfirstlane_b32 s7, v1
	s_mul_i32 s17, s15, s3
	s_delay_alu instid0(VALU_DEP_1)
	s_mul_hi_u32 s19, s15, s7
	s_mul_i32 s16, s16, s7
	s_add_i32 s17, s19, s17
	s_mul_i32 s15, s15, s7
	s_add_i32 s17, s17, s16
	s_mul_hi_u32 s19, s3, s15
	s_mul_i32 s20, s3, s15
	s_mul_hi_u32 s15, s7, s15
	s_mul_hi_u32 s21, s7, s17
	s_mul_i32 s7, s7, s17
	s_mul_hi_u32 s16, s3, s17
	s_add_u32 s7, s15, s7
	s_addc_u32 s15, 0, s21
	s_add_u32 s7, s7, s20
	s_mul_i32 s17, s3, s17
	s_addc_u32 s7, s15, s19
	s_addc_u32 s15, s16, 0
	s_add_u32 s7, s7, s17
	s_addc_u32 s15, 0, s15
	v_add_co_u32 v1, s7, v1, s7
	s_delay_alu instid0(VALU_DEP_1) | instskip(SKIP_1) | instid1(VALU_DEP_1)
	s_cmp_lg_u32 s7, 0
	s_addc_u32 s3, s3, s15
	v_readfirstlane_b32 s7, v1
	s_mul_i32 s15, s12, s3
	s_mul_hi_u32 s3, s12, s3
	s_delay_alu instid0(VALU_DEP_1) | instskip(NEXT) | instid1(SALU_CYCLE_1)
	s_mul_hi_u32 s7, s12, s7
	s_add_u32 s7, s7, s15
	s_addc_u32 s3, 0, s3
	s_add_u32 s7, s7, 0
	s_addc_u32 s3, s3, 0
	s_addc_u32 s7, 0, 0
	s_add_u32 s3, s3, 0
	s_addc_u32 s7, 0, s7
	s_mul_hi_u32 s15, s10, s3
	s_mul_i32 s17, s10, s7
	s_mul_i32 s19, s10, s3
	s_add_i32 s15, s15, s17
	v_sub_co_u32 v1, s17, s12, s19
	s_mul_i32 s16, s11, s3
	s_delay_alu instid0(SALU_CYCLE_1) | instskip(NEXT) | instid1(VALU_DEP_1)
	s_add_i32 s15, s15, s16
	v_sub_co_u32 v2, s19, v1, s10
	s_sub_i32 s16, 0, s15
	s_cmp_lg_u32 s17, 0
	s_subb_u32 s16, s16, s11
	s_cmp_lg_u32 s19, 0
	v_readfirstlane_b32 s19, v2
	s_subb_u32 s16, s16, 0
	s_delay_alu instid0(SALU_CYCLE_1) | instskip(SKIP_1) | instid1(VALU_DEP_1)
	s_cmp_ge_u32 s16, s11
	s_cselect_b32 s20, -1, 0
	s_cmp_ge_u32 s19, s10
	s_cselect_b32 s19, -1, 0
	s_cmp_eq_u32 s16, s11
	s_cselect_b32 s16, s19, s20
	s_add_u32 s19, s3, 1
	s_addc_u32 s20, s7, 0
	s_add_u32 s21, s3, 2
	s_addc_u32 s22, s7, 0
	s_cmp_lg_u32 s16, 0
	s_cselect_b32 s16, s21, s19
	s_cselect_b32 s19, s22, s20
	s_cmp_lg_u32 s17, 0
	v_readfirstlane_b32 s17, v1
	s_subb_u32 s15, 0, s15
	s_delay_alu instid0(SALU_CYCLE_1) | instskip(SKIP_1) | instid1(VALU_DEP_1)
	s_cmp_ge_u32 s15, s11
	s_cselect_b32 s20, -1, 0
	s_cmp_ge_u32 s17, s10
	s_cselect_b32 s10, -1, 0
	s_cmp_eq_u32 s15, s11
	s_cselect_b32 s10, s10, s20
	s_delay_alu instid0(SALU_CYCLE_1) | instskip(SKIP_2) | instid1(SALU_CYCLE_1)
	s_cmp_lg_u32 s10, 0
	s_cselect_b32 s11, s19, s7
	s_cselect_b32 s10, s16, s3
	s_xor_b64 s[10:11], s[10:11], s[8:9]
	s_delay_alu instid0(SALU_CYCLE_1)
	s_sub_u32 s16, s10, s8
	s_subb_u32 s17, s11, s8
	s_and_not1_b32 vcc_lo, exec_lo, s6
	s_lshr_b32 s3, s18, 16
	s_cbranch_vccnz .LBB27_3
.LBB27_2:
	v_cvt_f32_u32_e32 v1, s2
	s_sub_i32 s7, 0, s2
	s_mov_b32 s17, 0
	s_delay_alu instid0(VALU_DEP_1) | instskip(SKIP_2) | instid1(VALU_DEP_1)
	v_rcp_iflag_f32_e32 v1, v1
	s_waitcnt_depctr 0xfff
	v_mul_f32_e32 v1, 0x4f7ffffe, v1
	v_cvt_u32_f32_e32 v1, v1
	s_delay_alu instid0(VALU_DEP_1) | instskip(NEXT) | instid1(VALU_DEP_1)
	v_readfirstlane_b32 s6, v1
	s_mul_i32 s7, s7, s6
	s_delay_alu instid0(SALU_CYCLE_1) | instskip(NEXT) | instid1(SALU_CYCLE_1)
	s_mul_hi_u32 s7, s6, s7
	s_add_i32 s6, s6, s7
	s_delay_alu instid0(SALU_CYCLE_1) | instskip(NEXT) | instid1(SALU_CYCLE_1)
	s_mul_hi_u32 s6, s12, s6
	s_mul_i32 s7, s6, s2
	s_add_i32 s8, s6, 1
	s_sub_i32 s7, s12, s7
	s_delay_alu instid0(SALU_CYCLE_1)
	s_sub_i32 s9, s7, s2
	s_cmp_ge_u32 s7, s2
	s_cselect_b32 s6, s8, s6
	s_cselect_b32 s7, s9, s7
	s_add_i32 s8, s6, 1
	s_cmp_ge_u32 s7, s2
	s_cselect_b32 s16, s8, s6
.LBB27_3:
	s_load_b64 s[6:7], s[0:1], 0x80
	v_bfe_u32 v3, v0, 10, 10
	s_and_b32 s3, 0xffff, s3
	s_delay_alu instid0(VALU_DEP_1) | instid1(SALU_CYCLE_1)
	v_mad_u64_u32 v[1:2], null, s14, s3, v[3:4]
	s_mov_b32 s3, exec_lo
	s_delay_alu instid0(VALU_DEP_1) | instskip(SKIP_1) | instid1(VALU_DEP_1)
	v_ashrrev_i32_e32 v2, 31, v1
	s_waitcnt lgkmcnt(0)
	v_cmpx_gt_i64_e64 s[6:7], v[1:2]
	s_cbranch_execz .LBB27_6
; %bb.4:
	s_load_b32 s3, s[4:5], 0xc
	s_load_b64 s[4:5], s[0:1], 0x88
	v_and_b32_e32 v0, 0x3ff, v0
	s_waitcnt lgkmcnt(0)
	s_and_b32 s3, s3, 0xffff
	s_delay_alu instid0(VALU_DEP_1) | instid1(SALU_CYCLE_1)
	v_mad_u64_u32 v[3:4], null, s13, s3, v[0:1]
	s_delay_alu instid0(VALU_DEP_1) | instskip(NEXT) | instid1(VALU_DEP_1)
	v_ashrrev_i32_e32 v4, 31, v3
	v_cmp_gt_i64_e32 vcc_lo, s[4:5], v[3:4]
	s_and_b32 exec_lo, exec_lo, vcc_lo
	s_cbranch_execz .LBB27_6
; %bb.5:
	s_load_b256 s[4:11], s[0:1], 0x48
	s_mul_i32 s13, s16, s2
	s_load_b64 s[2:3], s[0:1], 0x20
	s_bfe_i64 s[14:15], s[16:17], 0x200000
	s_sub_i32 s12, s12, s13
	s_waitcnt lgkmcnt(0)
	s_mul_i32 s13, s4, s15
	s_mul_hi_u32 s14, s4, s16
	s_mul_i32 s5, s5, s16
	v_mul_lo_u32 v0, s9, v1
	v_mul_lo_u32 v9, s8, v2
	v_mad_u64_u32 v[5:6], null, s8, v1, 0
	s_add_i32 s8, s14, s13
	s_mul_i32 s4, s4, s16
	s_add_i32 s5, s8, s5
	v_mul_lo_u32 v10, s11, v3
	s_lshl_b64 s[4:5], s[4:5], 3
	v_mul_lo_u32 v11, s10, v4
	v_mad_u64_u32 v[7:8], null, s10, v3, 0
	s_add_u32 s4, s2, s4
	s_addc_u32 s5, s3, s5
	s_ashr_i32 s13, s12, 31
	v_add3_u32 v6, v6, v9, v0
	s_mul_hi_u32 s17, s6, s12
	s_mul_i32 s2, s6, s13
	s_mul_i32 s7, s7, s12
	s_add_i32 s3, s17, s2
	v_add3_u32 v8, v8, v11, v10
	s_mul_i32 s2, s6, s12
	s_add_i32 s3, s3, s7
	v_lshlrev_b64 v[5:6], 3, v[5:6]
	s_lshl_b64 s[2:3], s[2:3], 3
	v_lshlrev_b64 v[7:8], 3, v[7:8]
	s_add_u32 s2, s4, s2
	s_addc_u32 s3, s5, s3
	s_load_b256 s[4:11], s[0:1], 0x0
	v_add_co_u32 v0, vcc_lo, s2, v5
	v_add_co_ci_u32_e32 v6, vcc_lo, s3, v6, vcc_lo
	s_delay_alu instid0(VALU_DEP_2) | instskip(NEXT) | instid1(VALU_DEP_2)
	v_add_co_u32 v5, vcc_lo, v0, v7
	v_add_co_ci_u32_e32 v6, vcc_lo, v6, v8, vcc_lo
	global_load_b64 v[5:6], v[5:6], off
	s_waitcnt lgkmcnt(0)
	s_mul_i32 s2, s8, s7
	s_mul_hi_u32 s3, s8, s6
	s_mul_i32 s7, s8, s6
	s_mul_i32 s6, s9, s6
	s_add_i32 s2, s3, s2
	s_mul_i32 s8, s7, s11
	s_mul_hi_u32 s9, s7, s10
	s_add_i32 s2, s2, s6
	s_mul_i32 s7, s7, s10
	s_add_i32 s6, s9, s8
	s_mul_i32 s2, s2, s10
	s_mul_i32 s3, s7, s15
	s_mul_hi_u32 s8, s7, s16
	s_add_i32 s2, s6, s2
	s_add_i32 s3, s8, s3
	s_mul_i32 s2, s2, s16
	s_mul_i32 s7, s7, s16
	s_add_i32 s3, s3, s2
	s_add_u32 s2, s4, s7
	s_addc_u32 s3, s5, s3
	s_waitcnt vmcnt(0)
	v_add_co_u32 v5, vcc_lo, s2, v5
	v_add_co_ci_u32_e32 v6, vcc_lo, s3, v6, vcc_lo
	global_load_u8 v7, v[5:6], off
	s_clause 0x1
	s_load_b256 s[4:11], s[0:1], 0x90
	s_load_b64 s[0:1], s[0:1], 0x68
	s_waitcnt lgkmcnt(0)
	s_mul_i32 s2, s4, s15
	s_mul_hi_u32 s3, s4, s16
	s_mul_i32 s4, s4, s16
	s_add_i32 s2, s3, s2
	s_mul_i32 s3, s5, s16
	v_mul_lo_u32 v0, s8, v2
	s_add_i32 s2, s2, s3
	s_add_u32 s0, s0, s4
	s_mul_i32 s3, s6, s13
	s_mul_hi_u32 s4, s6, s12
	s_addc_u32 s1, s1, s2
	s_add_i32 s2, s4, s3
	s_mul_i32 s3, s7, s12
	s_mul_i32 s4, s6, s12
	s_add_i32 s2, s2, s3
	s_add_u32 s0, s0, s4
	s_addc_u32 s1, s1, s2
	v_mul_lo_u32 v2, s10, v4
	v_mad_u64_u32 v[5:6], null, s8, v1, s[0:1]
	v_mul_lo_u32 v1, s9, v1
	s_delay_alu instid0(VALU_DEP_1) | instskip(NEXT) | instid1(VALU_DEP_1)
	v_add3_u32 v6, v1, v6, v0
	v_mad_u64_u32 v[0:1], null, s10, v3, v[5:6]
	v_mul_lo_u32 v3, s11, v3
	s_delay_alu instid0(VALU_DEP_1)
	v_add3_u32 v1, v3, v1, v2
	s_waitcnt vmcnt(0)
	global_store_b8 v[0:1], v7, off
.LBB27_6:
	s_nop 0
	s_sendmsg sendmsg(MSG_DEALLOC_VGPRS)
	s_endpgm
.LBB27_7:
                                        ; implicit-def: $sgpr16_sgpr17
	s_lshr_b32 s3, s18, 16
	s_branch .LBB27_2
	.section	.rodata,"a",@progbits
	.p2align	6, 0x0
	.amdhsa_kernel _ZN2at6native31max_unpooling3d_backward_kernelIhEEvPKT_lllN5torch10headeronly6detail27GenericPackedTensorAccessorINS7_14TensorAccessorIN3c108ArrayRefIlEElLm3ENS6_16DefaultPtrTraitsElEENS_6detail16IndexBoundsCheckILm4ElEElLm4ESD_lEENS8_INS9_ISC_S2_Lm3ESD_lEESH_S2_Lm4ESD_lEEi
		.amdhsa_group_segment_fixed_size 0
		.amdhsa_private_segment_fixed_size 0
		.amdhsa_kernarg_size 440
		.amdhsa_user_sgpr_count 13
		.amdhsa_user_sgpr_dispatch_ptr 0
		.amdhsa_user_sgpr_queue_ptr 0
		.amdhsa_user_sgpr_kernarg_segment_ptr 1
		.amdhsa_user_sgpr_dispatch_id 0
		.amdhsa_user_sgpr_private_segment_size 0
		.amdhsa_wavefront_size32 1
		.amdhsa_uses_dynamic_stack 0
		.amdhsa_enable_private_segment 0
		.amdhsa_system_sgpr_workgroup_id_x 1
		.amdhsa_system_sgpr_workgroup_id_y 1
		.amdhsa_system_sgpr_workgroup_id_z 1
		.amdhsa_system_sgpr_workgroup_info 0
		.amdhsa_system_vgpr_workitem_id 1
		.amdhsa_next_free_vgpr 12
		.amdhsa_next_free_sgpr 24
		.amdhsa_reserve_vcc 1
		.amdhsa_float_round_mode_32 0
		.amdhsa_float_round_mode_16_64 0
		.amdhsa_float_denorm_mode_32 3
		.amdhsa_float_denorm_mode_16_64 3
		.amdhsa_dx10_clamp 1
		.amdhsa_ieee_mode 1
		.amdhsa_fp16_overflow 0
		.amdhsa_workgroup_processor_mode 1
		.amdhsa_memory_ordered 1
		.amdhsa_forward_progress 0
		.amdhsa_shared_vgpr_count 0
		.amdhsa_exception_fp_ieee_invalid_op 0
		.amdhsa_exception_fp_denorm_src 0
		.amdhsa_exception_fp_ieee_div_zero 0
		.amdhsa_exception_fp_ieee_overflow 0
		.amdhsa_exception_fp_ieee_underflow 0
		.amdhsa_exception_fp_ieee_inexact 0
		.amdhsa_exception_int_div_zero 0
	.end_amdhsa_kernel
	.section	.text._ZN2at6native31max_unpooling3d_backward_kernelIhEEvPKT_lllN5torch10headeronly6detail27GenericPackedTensorAccessorINS7_14TensorAccessorIN3c108ArrayRefIlEElLm3ENS6_16DefaultPtrTraitsElEENS_6detail16IndexBoundsCheckILm4ElEElLm4ESD_lEENS8_INS9_ISC_S2_Lm3ESD_lEESH_S2_Lm4ESD_lEEi,"axG",@progbits,_ZN2at6native31max_unpooling3d_backward_kernelIhEEvPKT_lllN5torch10headeronly6detail27GenericPackedTensorAccessorINS7_14TensorAccessorIN3c108ArrayRefIlEElLm3ENS6_16DefaultPtrTraitsElEENS_6detail16IndexBoundsCheckILm4ElEElLm4ESD_lEENS8_INS9_ISC_S2_Lm3ESD_lEESH_S2_Lm4ESD_lEEi,comdat
.Lfunc_end27:
	.size	_ZN2at6native31max_unpooling3d_backward_kernelIhEEvPKT_lllN5torch10headeronly6detail27GenericPackedTensorAccessorINS7_14TensorAccessorIN3c108ArrayRefIlEElLm3ENS6_16DefaultPtrTraitsElEENS_6detail16IndexBoundsCheckILm4ElEElLm4ESD_lEENS8_INS9_ISC_S2_Lm3ESD_lEESH_S2_Lm4ESD_lEEi, .Lfunc_end27-_ZN2at6native31max_unpooling3d_backward_kernelIhEEvPKT_lllN5torch10headeronly6detail27GenericPackedTensorAccessorINS7_14TensorAccessorIN3c108ArrayRefIlEElLm3ENS6_16DefaultPtrTraitsElEENS_6detail16IndexBoundsCheckILm4ElEElLm4ESD_lEENS8_INS9_ISC_S2_Lm3ESD_lEESH_S2_Lm4ESD_lEEi
                                        ; -- End function
	.section	.AMDGPU.csdata,"",@progbits
; Kernel info:
; codeLenInByte = 1432
; NumSgprs: 26
; NumVgprs: 12
; ScratchSize: 0
; MemoryBound: 0
; FloatMode: 240
; IeeeMode: 1
; LDSByteSize: 0 bytes/workgroup (compile time only)
; SGPRBlocks: 3
; VGPRBlocks: 1
; NumSGPRsForWavesPerEU: 26
; NumVGPRsForWavesPerEU: 12
; Occupancy: 16
; WaveLimiterHint : 1
; COMPUTE_PGM_RSRC2:SCRATCH_EN: 0
; COMPUTE_PGM_RSRC2:USER_SGPR: 13
; COMPUTE_PGM_RSRC2:TRAP_HANDLER: 0
; COMPUTE_PGM_RSRC2:TGID_X_EN: 1
; COMPUTE_PGM_RSRC2:TGID_Y_EN: 1
; COMPUTE_PGM_RSRC2:TGID_Z_EN: 1
; COMPUTE_PGM_RSRC2:TIDIG_COMP_CNT: 1
	.section	.text._ZN2at6native31max_unpooling3d_backward_kernelIaEEvPKT_lllN5torch10headeronly6detail27GenericPackedTensorAccessorINS7_14TensorAccessorIN3c108ArrayRefIlEElLm3ENS6_16DefaultPtrTraitsElEENS_6detail16IndexBoundsCheckILm4ElEElLm4ESD_lEENS8_INS9_ISC_S2_Lm3ESD_lEESH_S2_Lm4ESD_lEEi,"axG",@progbits,_ZN2at6native31max_unpooling3d_backward_kernelIaEEvPKT_lllN5torch10headeronly6detail27GenericPackedTensorAccessorINS7_14TensorAccessorIN3c108ArrayRefIlEElLm3ENS6_16DefaultPtrTraitsElEENS_6detail16IndexBoundsCheckILm4ElEElLm4ESD_lEENS8_INS9_ISC_S2_Lm3ESD_lEESH_S2_Lm4ESD_lEEi,comdat
	.protected	_ZN2at6native31max_unpooling3d_backward_kernelIaEEvPKT_lllN5torch10headeronly6detail27GenericPackedTensorAccessorINS7_14TensorAccessorIN3c108ArrayRefIlEElLm3ENS6_16DefaultPtrTraitsElEENS_6detail16IndexBoundsCheckILm4ElEElLm4ESD_lEENS8_INS9_ISC_S2_Lm3ESD_lEESH_S2_Lm4ESD_lEEi ; -- Begin function _ZN2at6native31max_unpooling3d_backward_kernelIaEEvPKT_lllN5torch10headeronly6detail27GenericPackedTensorAccessorINS7_14TensorAccessorIN3c108ArrayRefIlEElLm3ENS6_16DefaultPtrTraitsElEENS_6detail16IndexBoundsCheckILm4ElEElLm4ESD_lEENS8_INS9_ISC_S2_Lm3ESD_lEESH_S2_Lm4ESD_lEEi
	.globl	_ZN2at6native31max_unpooling3d_backward_kernelIaEEvPKT_lllN5torch10headeronly6detail27GenericPackedTensorAccessorINS7_14TensorAccessorIN3c108ArrayRefIlEElLm3ENS6_16DefaultPtrTraitsElEENS_6detail16IndexBoundsCheckILm4ElEElLm4ESD_lEENS8_INS9_ISC_S2_Lm3ESD_lEESH_S2_Lm4ESD_lEEi
	.p2align	8
	.type	_ZN2at6native31max_unpooling3d_backward_kernelIaEEvPKT_lllN5torch10headeronly6detail27GenericPackedTensorAccessorINS7_14TensorAccessorIN3c108ArrayRefIlEElLm3ENS6_16DefaultPtrTraitsElEENS_6detail16IndexBoundsCheckILm4ElEElLm4ESD_lEENS8_INS9_ISC_S2_Lm3ESD_lEESH_S2_Lm4ESD_lEEi,@function
_ZN2at6native31max_unpooling3d_backward_kernelIaEEvPKT_lllN5torch10headeronly6detail27GenericPackedTensorAccessorINS7_14TensorAccessorIN3c108ArrayRefIlEElLm3ENS6_16DefaultPtrTraitsElEENS_6detail16IndexBoundsCheckILm4ElEElLm4ESD_lEENS8_INS9_ISC_S2_Lm3ESD_lEESH_S2_Lm4ESD_lEEi: ; @_ZN2at6native31max_unpooling3d_backward_kernelIaEEvPKT_lllN5torch10headeronly6detail27GenericPackedTensorAccessorINS7_14TensorAccessorIN3c108ArrayRefIlEElLm3ENS6_16DefaultPtrTraitsElEENS_6detail16IndexBoundsCheckILm4ElEElLm4ESD_lEENS8_INS9_ISC_S2_Lm3ESD_lEESH_S2_Lm4ESD_lEEi
; %bb.0:
	s_clause 0x2
	s_load_b64 s[2:3], s[0:1], 0x78
	s_load_b32 s8, s[0:1], 0xb0
	s_load_b32 s18, s[0:1], 0xc4
	s_add_u32 s4, s0, 0xb8
	s_mov_b32 s6, 0
	s_addc_u32 s5, s1, 0
	s_waitcnt lgkmcnt(0)
	s_mov_b32 s7, s3
	s_add_i32 s12, s15, s8
	s_cmp_lg_u64 s[6:7], 0
	s_cbranch_scc0 .LBB28_7
; %bb.1:
	s_ashr_i32 s8, s3, 31
	s_delay_alu instid0(SALU_CYCLE_1) | instskip(SKIP_2) | instid1(SALU_CYCLE_1)
	s_add_u32 s10, s2, s8
	s_mov_b32 s9, s8
	s_addc_u32 s11, s3, s8
	s_xor_b64 s[10:11], s[10:11], s[8:9]
	s_delay_alu instid0(SALU_CYCLE_1) | instskip(SKIP_3) | instid1(VALU_DEP_1)
	v_cvt_f32_u32_e32 v1, s10
	v_cvt_f32_u32_e32 v2, s11
	s_sub_u32 s15, 0, s10
	s_subb_u32 s16, 0, s11
	v_fmamk_f32 v1, v2, 0x4f800000, v1
	s_delay_alu instid0(VALU_DEP_1) | instskip(SKIP_2) | instid1(VALU_DEP_1)
	v_rcp_f32_e32 v1, v1
	s_waitcnt_depctr 0xfff
	v_mul_f32_e32 v1, 0x5f7ffffc, v1
	v_mul_f32_e32 v2, 0x2f800000, v1
	s_delay_alu instid0(VALU_DEP_1) | instskip(NEXT) | instid1(VALU_DEP_1)
	v_trunc_f32_e32 v2, v2
	v_fmamk_f32 v1, v2, 0xcf800000, v1
	v_cvt_u32_f32_e32 v2, v2
	s_delay_alu instid0(VALU_DEP_2) | instskip(NEXT) | instid1(VALU_DEP_2)
	v_cvt_u32_f32_e32 v1, v1
	v_readfirstlane_b32 s3, v2
	s_delay_alu instid0(VALU_DEP_2) | instskip(NEXT) | instid1(VALU_DEP_2)
	v_readfirstlane_b32 s7, v1
	s_mul_i32 s17, s15, s3
	s_delay_alu instid0(VALU_DEP_1)
	s_mul_hi_u32 s20, s15, s7
	s_mul_i32 s19, s16, s7
	s_add_i32 s17, s20, s17
	s_mul_i32 s21, s15, s7
	s_add_i32 s17, s17, s19
	s_mul_hi_u32 s20, s7, s21
	s_mul_hi_u32 s22, s3, s21
	s_mul_i32 s19, s3, s21
	s_mul_hi_u32 s21, s7, s17
	s_mul_i32 s7, s7, s17
	s_mul_hi_u32 s23, s3, s17
	s_add_u32 s7, s20, s7
	s_addc_u32 s20, 0, s21
	s_add_u32 s7, s7, s19
	s_mul_i32 s17, s3, s17
	s_addc_u32 s7, s20, s22
	s_addc_u32 s19, s23, 0
	s_add_u32 s7, s7, s17
	s_addc_u32 s17, 0, s19
	v_add_co_u32 v1, s7, v1, s7
	s_delay_alu instid0(VALU_DEP_1) | instskip(SKIP_1) | instid1(VALU_DEP_1)
	s_cmp_lg_u32 s7, 0
	s_addc_u32 s3, s3, s17
	v_readfirstlane_b32 s7, v1
	s_mul_i32 s17, s15, s3
	s_delay_alu instid0(VALU_DEP_1)
	s_mul_hi_u32 s19, s15, s7
	s_mul_i32 s16, s16, s7
	s_add_i32 s17, s19, s17
	s_mul_i32 s15, s15, s7
	s_add_i32 s17, s17, s16
	s_mul_hi_u32 s19, s3, s15
	s_mul_i32 s20, s3, s15
	s_mul_hi_u32 s15, s7, s15
	s_mul_hi_u32 s21, s7, s17
	s_mul_i32 s7, s7, s17
	s_mul_hi_u32 s16, s3, s17
	s_add_u32 s7, s15, s7
	s_addc_u32 s15, 0, s21
	s_add_u32 s7, s7, s20
	s_mul_i32 s17, s3, s17
	s_addc_u32 s7, s15, s19
	s_addc_u32 s15, s16, 0
	s_add_u32 s7, s7, s17
	s_addc_u32 s15, 0, s15
	v_add_co_u32 v1, s7, v1, s7
	s_delay_alu instid0(VALU_DEP_1) | instskip(SKIP_1) | instid1(VALU_DEP_1)
	s_cmp_lg_u32 s7, 0
	s_addc_u32 s3, s3, s15
	v_readfirstlane_b32 s7, v1
	s_mul_i32 s15, s12, s3
	s_mul_hi_u32 s3, s12, s3
	s_delay_alu instid0(VALU_DEP_1) | instskip(NEXT) | instid1(SALU_CYCLE_1)
	s_mul_hi_u32 s7, s12, s7
	s_add_u32 s7, s7, s15
	s_addc_u32 s3, 0, s3
	s_add_u32 s7, s7, 0
	s_addc_u32 s3, s3, 0
	s_addc_u32 s7, 0, 0
	s_add_u32 s3, s3, 0
	s_addc_u32 s7, 0, s7
	s_mul_hi_u32 s15, s10, s3
	s_mul_i32 s17, s10, s7
	s_mul_i32 s19, s10, s3
	s_add_i32 s15, s15, s17
	v_sub_co_u32 v1, s17, s12, s19
	s_mul_i32 s16, s11, s3
	s_delay_alu instid0(SALU_CYCLE_1) | instskip(NEXT) | instid1(VALU_DEP_1)
	s_add_i32 s15, s15, s16
	v_sub_co_u32 v2, s19, v1, s10
	s_sub_i32 s16, 0, s15
	s_cmp_lg_u32 s17, 0
	s_subb_u32 s16, s16, s11
	s_cmp_lg_u32 s19, 0
	v_readfirstlane_b32 s19, v2
	s_subb_u32 s16, s16, 0
	s_delay_alu instid0(SALU_CYCLE_1) | instskip(SKIP_1) | instid1(VALU_DEP_1)
	s_cmp_ge_u32 s16, s11
	s_cselect_b32 s20, -1, 0
	s_cmp_ge_u32 s19, s10
	s_cselect_b32 s19, -1, 0
	s_cmp_eq_u32 s16, s11
	s_cselect_b32 s16, s19, s20
	s_add_u32 s19, s3, 1
	s_addc_u32 s20, s7, 0
	s_add_u32 s21, s3, 2
	s_addc_u32 s22, s7, 0
	s_cmp_lg_u32 s16, 0
	s_cselect_b32 s16, s21, s19
	s_cselect_b32 s19, s22, s20
	s_cmp_lg_u32 s17, 0
	v_readfirstlane_b32 s17, v1
	s_subb_u32 s15, 0, s15
	s_delay_alu instid0(SALU_CYCLE_1) | instskip(SKIP_1) | instid1(VALU_DEP_1)
	s_cmp_ge_u32 s15, s11
	s_cselect_b32 s20, -1, 0
	s_cmp_ge_u32 s17, s10
	s_cselect_b32 s10, -1, 0
	s_cmp_eq_u32 s15, s11
	s_cselect_b32 s10, s10, s20
	s_delay_alu instid0(SALU_CYCLE_1) | instskip(SKIP_2) | instid1(SALU_CYCLE_1)
	s_cmp_lg_u32 s10, 0
	s_cselect_b32 s11, s19, s7
	s_cselect_b32 s10, s16, s3
	s_xor_b64 s[10:11], s[10:11], s[8:9]
	s_delay_alu instid0(SALU_CYCLE_1)
	s_sub_u32 s16, s10, s8
	s_subb_u32 s17, s11, s8
	s_and_not1_b32 vcc_lo, exec_lo, s6
	s_lshr_b32 s3, s18, 16
	s_cbranch_vccnz .LBB28_3
.LBB28_2:
	v_cvt_f32_u32_e32 v1, s2
	s_sub_i32 s7, 0, s2
	s_mov_b32 s17, 0
	s_delay_alu instid0(VALU_DEP_1) | instskip(SKIP_2) | instid1(VALU_DEP_1)
	v_rcp_iflag_f32_e32 v1, v1
	s_waitcnt_depctr 0xfff
	v_mul_f32_e32 v1, 0x4f7ffffe, v1
	v_cvt_u32_f32_e32 v1, v1
	s_delay_alu instid0(VALU_DEP_1) | instskip(NEXT) | instid1(VALU_DEP_1)
	v_readfirstlane_b32 s6, v1
	s_mul_i32 s7, s7, s6
	s_delay_alu instid0(SALU_CYCLE_1) | instskip(NEXT) | instid1(SALU_CYCLE_1)
	s_mul_hi_u32 s7, s6, s7
	s_add_i32 s6, s6, s7
	s_delay_alu instid0(SALU_CYCLE_1) | instskip(NEXT) | instid1(SALU_CYCLE_1)
	s_mul_hi_u32 s6, s12, s6
	s_mul_i32 s7, s6, s2
	s_add_i32 s8, s6, 1
	s_sub_i32 s7, s12, s7
	s_delay_alu instid0(SALU_CYCLE_1)
	s_sub_i32 s9, s7, s2
	s_cmp_ge_u32 s7, s2
	s_cselect_b32 s6, s8, s6
	s_cselect_b32 s7, s9, s7
	s_add_i32 s8, s6, 1
	s_cmp_ge_u32 s7, s2
	s_cselect_b32 s16, s8, s6
.LBB28_3:
	s_load_b64 s[6:7], s[0:1], 0x80
	v_bfe_u32 v3, v0, 10, 10
	s_and_b32 s3, 0xffff, s3
	s_delay_alu instid0(VALU_DEP_1) | instid1(SALU_CYCLE_1)
	v_mad_u64_u32 v[1:2], null, s14, s3, v[3:4]
	s_mov_b32 s3, exec_lo
	s_delay_alu instid0(VALU_DEP_1) | instskip(SKIP_1) | instid1(VALU_DEP_1)
	v_ashrrev_i32_e32 v2, 31, v1
	s_waitcnt lgkmcnt(0)
	v_cmpx_gt_i64_e64 s[6:7], v[1:2]
	s_cbranch_execz .LBB28_6
; %bb.4:
	s_load_b32 s3, s[4:5], 0xc
	s_load_b64 s[4:5], s[0:1], 0x88
	v_and_b32_e32 v0, 0x3ff, v0
	s_waitcnt lgkmcnt(0)
	s_and_b32 s3, s3, 0xffff
	s_delay_alu instid0(VALU_DEP_1) | instid1(SALU_CYCLE_1)
	v_mad_u64_u32 v[3:4], null, s13, s3, v[0:1]
	s_delay_alu instid0(VALU_DEP_1) | instskip(NEXT) | instid1(VALU_DEP_1)
	v_ashrrev_i32_e32 v4, 31, v3
	v_cmp_gt_i64_e32 vcc_lo, s[4:5], v[3:4]
	s_and_b32 exec_lo, exec_lo, vcc_lo
	s_cbranch_execz .LBB28_6
; %bb.5:
	s_load_b256 s[4:11], s[0:1], 0x48
	s_mul_i32 s13, s16, s2
	s_load_b64 s[2:3], s[0:1], 0x20
	s_bfe_i64 s[14:15], s[16:17], 0x200000
	s_sub_i32 s12, s12, s13
	s_waitcnt lgkmcnt(0)
	s_mul_i32 s13, s4, s15
	s_mul_hi_u32 s14, s4, s16
	s_mul_i32 s5, s5, s16
	v_mul_lo_u32 v0, s9, v1
	v_mul_lo_u32 v9, s8, v2
	v_mad_u64_u32 v[5:6], null, s8, v1, 0
	s_add_i32 s8, s14, s13
	s_mul_i32 s4, s4, s16
	s_add_i32 s5, s8, s5
	v_mul_lo_u32 v10, s11, v3
	s_lshl_b64 s[4:5], s[4:5], 3
	v_mul_lo_u32 v11, s10, v4
	v_mad_u64_u32 v[7:8], null, s10, v3, 0
	s_add_u32 s4, s2, s4
	s_addc_u32 s5, s3, s5
	s_ashr_i32 s13, s12, 31
	v_add3_u32 v6, v6, v9, v0
	s_mul_hi_u32 s17, s6, s12
	s_mul_i32 s2, s6, s13
	s_mul_i32 s7, s7, s12
	s_add_i32 s3, s17, s2
	v_add3_u32 v8, v8, v11, v10
	s_mul_i32 s2, s6, s12
	s_add_i32 s3, s3, s7
	v_lshlrev_b64 v[5:6], 3, v[5:6]
	s_lshl_b64 s[2:3], s[2:3], 3
	v_lshlrev_b64 v[7:8], 3, v[7:8]
	s_add_u32 s2, s4, s2
	s_addc_u32 s3, s5, s3
	s_load_b256 s[4:11], s[0:1], 0x0
	v_add_co_u32 v0, vcc_lo, s2, v5
	v_add_co_ci_u32_e32 v6, vcc_lo, s3, v6, vcc_lo
	s_delay_alu instid0(VALU_DEP_2) | instskip(NEXT) | instid1(VALU_DEP_2)
	v_add_co_u32 v5, vcc_lo, v0, v7
	v_add_co_ci_u32_e32 v6, vcc_lo, v6, v8, vcc_lo
	global_load_b64 v[5:6], v[5:6], off
	s_waitcnt lgkmcnt(0)
	s_mul_i32 s2, s8, s7
	s_mul_hi_u32 s3, s8, s6
	s_mul_i32 s7, s8, s6
	s_mul_i32 s6, s9, s6
	s_add_i32 s2, s3, s2
	s_mul_i32 s8, s7, s11
	s_mul_hi_u32 s9, s7, s10
	s_add_i32 s2, s2, s6
	s_mul_i32 s7, s7, s10
	s_add_i32 s6, s9, s8
	s_mul_i32 s2, s2, s10
	s_mul_i32 s3, s7, s15
	s_mul_hi_u32 s8, s7, s16
	s_add_i32 s2, s6, s2
	s_add_i32 s3, s8, s3
	s_mul_i32 s2, s2, s16
	s_mul_i32 s7, s7, s16
	s_add_i32 s3, s3, s2
	s_add_u32 s2, s4, s7
	s_addc_u32 s3, s5, s3
	s_waitcnt vmcnt(0)
	v_add_co_u32 v5, vcc_lo, s2, v5
	v_add_co_ci_u32_e32 v6, vcc_lo, s3, v6, vcc_lo
	global_load_u8 v7, v[5:6], off
	s_clause 0x1
	s_load_b256 s[4:11], s[0:1], 0x90
	s_load_b64 s[0:1], s[0:1], 0x68
	s_waitcnt lgkmcnt(0)
	s_mul_i32 s2, s4, s15
	s_mul_hi_u32 s3, s4, s16
	s_mul_i32 s4, s4, s16
	s_add_i32 s2, s3, s2
	s_mul_i32 s3, s5, s16
	v_mul_lo_u32 v0, s8, v2
	s_add_i32 s2, s2, s3
	s_add_u32 s0, s0, s4
	s_mul_i32 s3, s6, s13
	s_mul_hi_u32 s4, s6, s12
	s_addc_u32 s1, s1, s2
	s_add_i32 s2, s4, s3
	s_mul_i32 s3, s7, s12
	s_mul_i32 s4, s6, s12
	s_add_i32 s2, s2, s3
	s_add_u32 s0, s0, s4
	s_addc_u32 s1, s1, s2
	v_mul_lo_u32 v2, s10, v4
	v_mad_u64_u32 v[5:6], null, s8, v1, s[0:1]
	v_mul_lo_u32 v1, s9, v1
	s_delay_alu instid0(VALU_DEP_1) | instskip(NEXT) | instid1(VALU_DEP_1)
	v_add3_u32 v6, v1, v6, v0
	v_mad_u64_u32 v[0:1], null, s10, v3, v[5:6]
	v_mul_lo_u32 v3, s11, v3
	s_delay_alu instid0(VALU_DEP_1)
	v_add3_u32 v1, v3, v1, v2
	s_waitcnt vmcnt(0)
	global_store_b8 v[0:1], v7, off
.LBB28_6:
	s_nop 0
	s_sendmsg sendmsg(MSG_DEALLOC_VGPRS)
	s_endpgm
.LBB28_7:
                                        ; implicit-def: $sgpr16_sgpr17
	s_lshr_b32 s3, s18, 16
	s_branch .LBB28_2
	.section	.rodata,"a",@progbits
	.p2align	6, 0x0
	.amdhsa_kernel _ZN2at6native31max_unpooling3d_backward_kernelIaEEvPKT_lllN5torch10headeronly6detail27GenericPackedTensorAccessorINS7_14TensorAccessorIN3c108ArrayRefIlEElLm3ENS6_16DefaultPtrTraitsElEENS_6detail16IndexBoundsCheckILm4ElEElLm4ESD_lEENS8_INS9_ISC_S2_Lm3ESD_lEESH_S2_Lm4ESD_lEEi
		.amdhsa_group_segment_fixed_size 0
		.amdhsa_private_segment_fixed_size 0
		.amdhsa_kernarg_size 440
		.amdhsa_user_sgpr_count 13
		.amdhsa_user_sgpr_dispatch_ptr 0
		.amdhsa_user_sgpr_queue_ptr 0
		.amdhsa_user_sgpr_kernarg_segment_ptr 1
		.amdhsa_user_sgpr_dispatch_id 0
		.amdhsa_user_sgpr_private_segment_size 0
		.amdhsa_wavefront_size32 1
		.amdhsa_uses_dynamic_stack 0
		.amdhsa_enable_private_segment 0
		.amdhsa_system_sgpr_workgroup_id_x 1
		.amdhsa_system_sgpr_workgroup_id_y 1
		.amdhsa_system_sgpr_workgroup_id_z 1
		.amdhsa_system_sgpr_workgroup_info 0
		.amdhsa_system_vgpr_workitem_id 1
		.amdhsa_next_free_vgpr 12
		.amdhsa_next_free_sgpr 24
		.amdhsa_reserve_vcc 1
		.amdhsa_float_round_mode_32 0
		.amdhsa_float_round_mode_16_64 0
		.amdhsa_float_denorm_mode_32 3
		.amdhsa_float_denorm_mode_16_64 3
		.amdhsa_dx10_clamp 1
		.amdhsa_ieee_mode 1
		.amdhsa_fp16_overflow 0
		.amdhsa_workgroup_processor_mode 1
		.amdhsa_memory_ordered 1
		.amdhsa_forward_progress 0
		.amdhsa_shared_vgpr_count 0
		.amdhsa_exception_fp_ieee_invalid_op 0
		.amdhsa_exception_fp_denorm_src 0
		.amdhsa_exception_fp_ieee_div_zero 0
		.amdhsa_exception_fp_ieee_overflow 0
		.amdhsa_exception_fp_ieee_underflow 0
		.amdhsa_exception_fp_ieee_inexact 0
		.amdhsa_exception_int_div_zero 0
	.end_amdhsa_kernel
	.section	.text._ZN2at6native31max_unpooling3d_backward_kernelIaEEvPKT_lllN5torch10headeronly6detail27GenericPackedTensorAccessorINS7_14TensorAccessorIN3c108ArrayRefIlEElLm3ENS6_16DefaultPtrTraitsElEENS_6detail16IndexBoundsCheckILm4ElEElLm4ESD_lEENS8_INS9_ISC_S2_Lm3ESD_lEESH_S2_Lm4ESD_lEEi,"axG",@progbits,_ZN2at6native31max_unpooling3d_backward_kernelIaEEvPKT_lllN5torch10headeronly6detail27GenericPackedTensorAccessorINS7_14TensorAccessorIN3c108ArrayRefIlEElLm3ENS6_16DefaultPtrTraitsElEENS_6detail16IndexBoundsCheckILm4ElEElLm4ESD_lEENS8_INS9_ISC_S2_Lm3ESD_lEESH_S2_Lm4ESD_lEEi,comdat
.Lfunc_end28:
	.size	_ZN2at6native31max_unpooling3d_backward_kernelIaEEvPKT_lllN5torch10headeronly6detail27GenericPackedTensorAccessorINS7_14TensorAccessorIN3c108ArrayRefIlEElLm3ENS6_16DefaultPtrTraitsElEENS_6detail16IndexBoundsCheckILm4ElEElLm4ESD_lEENS8_INS9_ISC_S2_Lm3ESD_lEESH_S2_Lm4ESD_lEEi, .Lfunc_end28-_ZN2at6native31max_unpooling3d_backward_kernelIaEEvPKT_lllN5torch10headeronly6detail27GenericPackedTensorAccessorINS7_14TensorAccessorIN3c108ArrayRefIlEElLm3ENS6_16DefaultPtrTraitsElEENS_6detail16IndexBoundsCheckILm4ElEElLm4ESD_lEENS8_INS9_ISC_S2_Lm3ESD_lEESH_S2_Lm4ESD_lEEi
                                        ; -- End function
	.section	.AMDGPU.csdata,"",@progbits
; Kernel info:
; codeLenInByte = 1432
; NumSgprs: 26
; NumVgprs: 12
; ScratchSize: 0
; MemoryBound: 0
; FloatMode: 240
; IeeeMode: 1
; LDSByteSize: 0 bytes/workgroup (compile time only)
; SGPRBlocks: 3
; VGPRBlocks: 1
; NumSGPRsForWavesPerEU: 26
; NumVGPRsForWavesPerEU: 12
; Occupancy: 16
; WaveLimiterHint : 1
; COMPUTE_PGM_RSRC2:SCRATCH_EN: 0
; COMPUTE_PGM_RSRC2:USER_SGPR: 13
; COMPUTE_PGM_RSRC2:TRAP_HANDLER: 0
; COMPUTE_PGM_RSRC2:TGID_X_EN: 1
; COMPUTE_PGM_RSRC2:TGID_Y_EN: 1
; COMPUTE_PGM_RSRC2:TGID_Z_EN: 1
; COMPUTE_PGM_RSRC2:TIDIG_COMP_CNT: 1
	.section	.text._ZN2at6native31max_unpooling3d_backward_kernelIiEEvPKT_lllN5torch10headeronly6detail27GenericPackedTensorAccessorINS7_14TensorAccessorIN3c108ArrayRefIlEElLm3ENS6_16DefaultPtrTraitsElEENS_6detail16IndexBoundsCheckILm4ElEElLm4ESD_lEENS8_INS9_ISC_S2_Lm3ESD_lEESH_S2_Lm4ESD_lEEi,"axG",@progbits,_ZN2at6native31max_unpooling3d_backward_kernelIiEEvPKT_lllN5torch10headeronly6detail27GenericPackedTensorAccessorINS7_14TensorAccessorIN3c108ArrayRefIlEElLm3ENS6_16DefaultPtrTraitsElEENS_6detail16IndexBoundsCheckILm4ElEElLm4ESD_lEENS8_INS9_ISC_S2_Lm3ESD_lEESH_S2_Lm4ESD_lEEi,comdat
	.protected	_ZN2at6native31max_unpooling3d_backward_kernelIiEEvPKT_lllN5torch10headeronly6detail27GenericPackedTensorAccessorINS7_14TensorAccessorIN3c108ArrayRefIlEElLm3ENS6_16DefaultPtrTraitsElEENS_6detail16IndexBoundsCheckILm4ElEElLm4ESD_lEENS8_INS9_ISC_S2_Lm3ESD_lEESH_S2_Lm4ESD_lEEi ; -- Begin function _ZN2at6native31max_unpooling3d_backward_kernelIiEEvPKT_lllN5torch10headeronly6detail27GenericPackedTensorAccessorINS7_14TensorAccessorIN3c108ArrayRefIlEElLm3ENS6_16DefaultPtrTraitsElEENS_6detail16IndexBoundsCheckILm4ElEElLm4ESD_lEENS8_INS9_ISC_S2_Lm3ESD_lEESH_S2_Lm4ESD_lEEi
	.globl	_ZN2at6native31max_unpooling3d_backward_kernelIiEEvPKT_lllN5torch10headeronly6detail27GenericPackedTensorAccessorINS7_14TensorAccessorIN3c108ArrayRefIlEElLm3ENS6_16DefaultPtrTraitsElEENS_6detail16IndexBoundsCheckILm4ElEElLm4ESD_lEENS8_INS9_ISC_S2_Lm3ESD_lEESH_S2_Lm4ESD_lEEi
	.p2align	8
	.type	_ZN2at6native31max_unpooling3d_backward_kernelIiEEvPKT_lllN5torch10headeronly6detail27GenericPackedTensorAccessorINS7_14TensorAccessorIN3c108ArrayRefIlEElLm3ENS6_16DefaultPtrTraitsElEENS_6detail16IndexBoundsCheckILm4ElEElLm4ESD_lEENS8_INS9_ISC_S2_Lm3ESD_lEESH_S2_Lm4ESD_lEEi,@function
_ZN2at6native31max_unpooling3d_backward_kernelIiEEvPKT_lllN5torch10headeronly6detail27GenericPackedTensorAccessorINS7_14TensorAccessorIN3c108ArrayRefIlEElLm3ENS6_16DefaultPtrTraitsElEENS_6detail16IndexBoundsCheckILm4ElEElLm4ESD_lEENS8_INS9_ISC_S2_Lm3ESD_lEESH_S2_Lm4ESD_lEEi: ; @_ZN2at6native31max_unpooling3d_backward_kernelIiEEvPKT_lllN5torch10headeronly6detail27GenericPackedTensorAccessorINS7_14TensorAccessorIN3c108ArrayRefIlEElLm3ENS6_16DefaultPtrTraitsElEENS_6detail16IndexBoundsCheckILm4ElEElLm4ESD_lEENS8_INS9_ISC_S2_Lm3ESD_lEESH_S2_Lm4ESD_lEEi
; %bb.0:
	s_clause 0x2
	s_load_b64 s[2:3], s[0:1], 0x78
	s_load_b32 s8, s[0:1], 0xb0
	s_load_b32 s18, s[0:1], 0xc4
	s_add_u32 s4, s0, 0xb8
	s_mov_b32 s6, 0
	s_addc_u32 s5, s1, 0
	s_waitcnt lgkmcnt(0)
	s_mov_b32 s7, s3
	s_add_i32 s12, s15, s8
	s_cmp_lg_u64 s[6:7], 0
	s_cbranch_scc0 .LBB29_7
; %bb.1:
	s_ashr_i32 s8, s3, 31
	s_delay_alu instid0(SALU_CYCLE_1) | instskip(SKIP_2) | instid1(SALU_CYCLE_1)
	s_add_u32 s10, s2, s8
	s_mov_b32 s9, s8
	s_addc_u32 s11, s3, s8
	s_xor_b64 s[10:11], s[10:11], s[8:9]
	s_delay_alu instid0(SALU_CYCLE_1) | instskip(SKIP_3) | instid1(VALU_DEP_1)
	v_cvt_f32_u32_e32 v1, s10
	v_cvt_f32_u32_e32 v2, s11
	s_sub_u32 s15, 0, s10
	s_subb_u32 s16, 0, s11
	v_fmamk_f32 v1, v2, 0x4f800000, v1
	s_delay_alu instid0(VALU_DEP_1) | instskip(SKIP_2) | instid1(VALU_DEP_1)
	v_rcp_f32_e32 v1, v1
	s_waitcnt_depctr 0xfff
	v_mul_f32_e32 v1, 0x5f7ffffc, v1
	v_mul_f32_e32 v2, 0x2f800000, v1
	s_delay_alu instid0(VALU_DEP_1) | instskip(NEXT) | instid1(VALU_DEP_1)
	v_trunc_f32_e32 v2, v2
	v_fmamk_f32 v1, v2, 0xcf800000, v1
	v_cvt_u32_f32_e32 v2, v2
	s_delay_alu instid0(VALU_DEP_2) | instskip(NEXT) | instid1(VALU_DEP_2)
	v_cvt_u32_f32_e32 v1, v1
	v_readfirstlane_b32 s3, v2
	s_delay_alu instid0(VALU_DEP_2) | instskip(NEXT) | instid1(VALU_DEP_2)
	v_readfirstlane_b32 s7, v1
	s_mul_i32 s17, s15, s3
	s_delay_alu instid0(VALU_DEP_1)
	s_mul_hi_u32 s20, s15, s7
	s_mul_i32 s19, s16, s7
	s_add_i32 s17, s20, s17
	s_mul_i32 s21, s15, s7
	s_add_i32 s17, s17, s19
	s_mul_hi_u32 s20, s7, s21
	s_mul_hi_u32 s22, s3, s21
	s_mul_i32 s19, s3, s21
	s_mul_hi_u32 s21, s7, s17
	s_mul_i32 s7, s7, s17
	s_mul_hi_u32 s23, s3, s17
	s_add_u32 s7, s20, s7
	s_addc_u32 s20, 0, s21
	s_add_u32 s7, s7, s19
	s_mul_i32 s17, s3, s17
	s_addc_u32 s7, s20, s22
	s_addc_u32 s19, s23, 0
	s_add_u32 s7, s7, s17
	s_addc_u32 s17, 0, s19
	v_add_co_u32 v1, s7, v1, s7
	s_delay_alu instid0(VALU_DEP_1) | instskip(SKIP_1) | instid1(VALU_DEP_1)
	s_cmp_lg_u32 s7, 0
	s_addc_u32 s3, s3, s17
	v_readfirstlane_b32 s7, v1
	s_mul_i32 s17, s15, s3
	s_delay_alu instid0(VALU_DEP_1)
	s_mul_hi_u32 s19, s15, s7
	s_mul_i32 s16, s16, s7
	s_add_i32 s17, s19, s17
	s_mul_i32 s15, s15, s7
	s_add_i32 s17, s17, s16
	s_mul_hi_u32 s19, s3, s15
	s_mul_i32 s20, s3, s15
	s_mul_hi_u32 s15, s7, s15
	s_mul_hi_u32 s21, s7, s17
	s_mul_i32 s7, s7, s17
	s_mul_hi_u32 s16, s3, s17
	s_add_u32 s7, s15, s7
	s_addc_u32 s15, 0, s21
	s_add_u32 s7, s7, s20
	s_mul_i32 s17, s3, s17
	s_addc_u32 s7, s15, s19
	s_addc_u32 s15, s16, 0
	s_add_u32 s7, s7, s17
	s_addc_u32 s15, 0, s15
	v_add_co_u32 v1, s7, v1, s7
	s_delay_alu instid0(VALU_DEP_1) | instskip(SKIP_1) | instid1(VALU_DEP_1)
	s_cmp_lg_u32 s7, 0
	s_addc_u32 s3, s3, s15
	v_readfirstlane_b32 s7, v1
	s_mul_i32 s15, s12, s3
	s_mul_hi_u32 s3, s12, s3
	s_delay_alu instid0(VALU_DEP_1) | instskip(NEXT) | instid1(SALU_CYCLE_1)
	s_mul_hi_u32 s7, s12, s7
	s_add_u32 s7, s7, s15
	s_addc_u32 s3, 0, s3
	s_add_u32 s7, s7, 0
	s_addc_u32 s3, s3, 0
	s_addc_u32 s7, 0, 0
	s_add_u32 s3, s3, 0
	s_addc_u32 s7, 0, s7
	s_mul_hi_u32 s15, s10, s3
	s_mul_i32 s17, s10, s7
	s_mul_i32 s19, s10, s3
	s_add_i32 s15, s15, s17
	v_sub_co_u32 v1, s17, s12, s19
	s_mul_i32 s16, s11, s3
	s_delay_alu instid0(SALU_CYCLE_1) | instskip(NEXT) | instid1(VALU_DEP_1)
	s_add_i32 s15, s15, s16
	v_sub_co_u32 v2, s19, v1, s10
	s_sub_i32 s16, 0, s15
	s_cmp_lg_u32 s17, 0
	s_subb_u32 s16, s16, s11
	s_cmp_lg_u32 s19, 0
	v_readfirstlane_b32 s19, v2
	s_subb_u32 s16, s16, 0
	s_delay_alu instid0(SALU_CYCLE_1) | instskip(SKIP_1) | instid1(VALU_DEP_1)
	s_cmp_ge_u32 s16, s11
	s_cselect_b32 s20, -1, 0
	s_cmp_ge_u32 s19, s10
	s_cselect_b32 s19, -1, 0
	s_cmp_eq_u32 s16, s11
	s_cselect_b32 s16, s19, s20
	s_add_u32 s19, s3, 1
	s_addc_u32 s20, s7, 0
	s_add_u32 s21, s3, 2
	s_addc_u32 s22, s7, 0
	s_cmp_lg_u32 s16, 0
	s_cselect_b32 s16, s21, s19
	s_cselect_b32 s19, s22, s20
	s_cmp_lg_u32 s17, 0
	v_readfirstlane_b32 s17, v1
	s_subb_u32 s15, 0, s15
	s_delay_alu instid0(SALU_CYCLE_1) | instskip(SKIP_1) | instid1(VALU_DEP_1)
	s_cmp_ge_u32 s15, s11
	s_cselect_b32 s20, -1, 0
	s_cmp_ge_u32 s17, s10
	s_cselect_b32 s10, -1, 0
	s_cmp_eq_u32 s15, s11
	s_cselect_b32 s10, s10, s20
	s_delay_alu instid0(SALU_CYCLE_1) | instskip(SKIP_2) | instid1(SALU_CYCLE_1)
	s_cmp_lg_u32 s10, 0
	s_cselect_b32 s11, s19, s7
	s_cselect_b32 s10, s16, s3
	s_xor_b64 s[10:11], s[10:11], s[8:9]
	s_delay_alu instid0(SALU_CYCLE_1)
	s_sub_u32 s16, s10, s8
	s_subb_u32 s17, s11, s8
	s_and_not1_b32 vcc_lo, exec_lo, s6
	s_lshr_b32 s3, s18, 16
	s_cbranch_vccnz .LBB29_3
.LBB29_2:
	v_cvt_f32_u32_e32 v1, s2
	s_sub_i32 s7, 0, s2
	s_mov_b32 s17, 0
	s_delay_alu instid0(VALU_DEP_1) | instskip(SKIP_2) | instid1(VALU_DEP_1)
	v_rcp_iflag_f32_e32 v1, v1
	s_waitcnt_depctr 0xfff
	v_mul_f32_e32 v1, 0x4f7ffffe, v1
	v_cvt_u32_f32_e32 v1, v1
	s_delay_alu instid0(VALU_DEP_1) | instskip(NEXT) | instid1(VALU_DEP_1)
	v_readfirstlane_b32 s6, v1
	s_mul_i32 s7, s7, s6
	s_delay_alu instid0(SALU_CYCLE_1) | instskip(NEXT) | instid1(SALU_CYCLE_1)
	s_mul_hi_u32 s7, s6, s7
	s_add_i32 s6, s6, s7
	s_delay_alu instid0(SALU_CYCLE_1) | instskip(NEXT) | instid1(SALU_CYCLE_1)
	s_mul_hi_u32 s6, s12, s6
	s_mul_i32 s7, s6, s2
	s_add_i32 s8, s6, 1
	s_sub_i32 s7, s12, s7
	s_delay_alu instid0(SALU_CYCLE_1)
	s_sub_i32 s9, s7, s2
	s_cmp_ge_u32 s7, s2
	s_cselect_b32 s6, s8, s6
	s_cselect_b32 s7, s9, s7
	s_add_i32 s8, s6, 1
	s_cmp_ge_u32 s7, s2
	s_cselect_b32 s16, s8, s6
.LBB29_3:
	s_load_b64 s[6:7], s[0:1], 0x80
	v_bfe_u32 v3, v0, 10, 10
	s_and_b32 s3, 0xffff, s3
	s_delay_alu instid0(VALU_DEP_1) | instid1(SALU_CYCLE_1)
	v_mad_u64_u32 v[1:2], null, s14, s3, v[3:4]
	s_mov_b32 s3, exec_lo
	s_delay_alu instid0(VALU_DEP_1) | instskip(SKIP_1) | instid1(VALU_DEP_1)
	v_ashrrev_i32_e32 v2, 31, v1
	s_waitcnt lgkmcnt(0)
	v_cmpx_gt_i64_e64 s[6:7], v[1:2]
	s_cbranch_execz .LBB29_6
; %bb.4:
	s_load_b32 s3, s[4:5], 0xc
	s_load_b64 s[4:5], s[0:1], 0x88
	v_and_b32_e32 v0, 0x3ff, v0
	s_waitcnt lgkmcnt(0)
	s_and_b32 s3, s3, 0xffff
	s_delay_alu instid0(VALU_DEP_1) | instid1(SALU_CYCLE_1)
	v_mad_u64_u32 v[3:4], null, s13, s3, v[0:1]
	s_delay_alu instid0(VALU_DEP_1) | instskip(NEXT) | instid1(VALU_DEP_1)
	v_ashrrev_i32_e32 v4, 31, v3
	v_cmp_gt_i64_e32 vcc_lo, s[4:5], v[3:4]
	s_and_b32 exec_lo, exec_lo, vcc_lo
	s_cbranch_execz .LBB29_6
; %bb.5:
	s_clause 0x1
	s_load_b256 s[4:11], s[0:1], 0x48
	s_load_b64 s[14:15], s[0:1], 0x20
	s_mul_i32 s13, s16, s2
	s_bfe_i64 s[2:3], s[16:17], 0x200000
	s_sub_i32 s12, s12, s13
	s_waitcnt lgkmcnt(0)
	s_mul_i32 s2, s4, s3
	s_mul_hi_u32 s13, s4, s16
	s_mul_i32 s5, s5, s16
	v_mul_lo_u32 v0, s9, v1
	v_mul_lo_u32 v9, s8, v2
	v_mad_u64_u32 v[5:6], null, s8, v1, 0
	s_add_i32 s2, s13, s2
	s_mul_i32 s4, s4, s16
	s_add_i32 s5, s2, s5
	v_mul_lo_u32 v10, s11, v3
	s_lshl_b64 s[4:5], s[4:5], 3
	v_mul_lo_u32 v11, s10, v4
	v_mad_u64_u32 v[7:8], null, s10, v3, 0
	s_mul_i32 s2, s7, s12
	s_add_u32 s7, s14, s4
	s_addc_u32 s8, s15, s5
	s_ashr_i32 s13, s12, 31
	v_add3_u32 v6, v6, v9, v0
	s_mul_hi_u32 s17, s6, s12
	s_mul_i32 s4, s6, s13
	v_add3_u32 v8, v8, v11, v10
	s_add_i32 s5, s17, s4
	s_mul_i32 s4, s6, s12
	s_add_i32 s5, s5, s2
	v_lshlrev_b64 v[5:6], 3, v[5:6]
	s_lshl_b64 s[4:5], s[4:5], 3
	v_lshlrev_b64 v[7:8], 3, v[7:8]
	s_add_u32 s2, s7, s4
	s_addc_u32 s4, s8, s5
	s_delay_alu instid0(VALU_DEP_2) | instskip(SKIP_2) | instid1(VALU_DEP_2)
	v_add_co_u32 v0, vcc_lo, s2, v5
	v_add_co_ci_u32_e32 v6, vcc_lo, s4, v6, vcc_lo
	s_load_b256 s[4:11], s[0:1], 0x0
	v_add_co_u32 v5, vcc_lo, v0, v7
	s_delay_alu instid0(VALU_DEP_2)
	v_add_co_ci_u32_e32 v6, vcc_lo, v6, v8, vcc_lo
	global_load_b64 v[5:6], v[5:6], off
	s_waitcnt lgkmcnt(0)
	s_mul_i32 s2, s8, s7
	s_mul_hi_u32 s7, s8, s6
	s_mul_i32 s8, s8, s6
	s_mul_i32 s6, s9, s6
	s_add_i32 s2, s7, s2
	s_mul_i32 s9, s8, s11
	s_mul_hi_u32 s11, s8, s10
	s_add_i32 s2, s2, s6
	s_mul_i32 s8, s8, s10
	s_add_i32 s6, s11, s9
	s_mul_i32 s2, s2, s10
	s_mul_i32 s7, s8, s3
	s_mul_hi_u32 s9, s8, s16
	s_add_i32 s2, s6, s2
	s_add_i32 s7, s9, s7
	s_mul_i32 s2, s2, s16
	s_mul_i32 s6, s8, s16
	s_add_i32 s7, s7, s2
	s_delay_alu instid0(SALU_CYCLE_1) | instskip(NEXT) | instid1(SALU_CYCLE_1)
	s_lshl_b64 s[6:7], s[6:7], 2
	s_add_u32 s2, s4, s6
	s_addc_u32 s4, s5, s7
	s_waitcnt vmcnt(0)
	v_lshlrev_b64 v[5:6], 2, v[5:6]
	s_delay_alu instid0(VALU_DEP_1) | instskip(NEXT) | instid1(VALU_DEP_2)
	v_add_co_u32 v5, vcc_lo, s2, v5
	v_add_co_ci_u32_e32 v6, vcc_lo, s4, v6, vcc_lo
	global_load_b32 v7, v[5:6], off
	s_clause 0x1
	s_load_b256 s[4:11], s[0:1], 0x90
	s_load_b64 s[0:1], s[0:1], 0x68
	s_waitcnt lgkmcnt(0)
	v_mul_lo_u32 v8, s9, v1
	v_mul_lo_u32 v2, s8, v2
	v_mad_u64_u32 v[5:6], null, s8, v1, 0
	s_mul_i32 s2, s4, s3
	s_mul_hi_u32 s3, s4, s16
	v_mul_lo_u32 v9, s11, v3
	s_add_i32 s2, s3, s2
	s_mul_i32 s3, s5, s16
	v_mul_lo_u32 v4, s10, v4
	s_add_i32 s3, s2, s3
	s_mul_i32 s2, s4, s16
	v_mad_u64_u32 v[0:1], null, s10, v3, 0
	s_lshl_b64 s[2:3], s[2:3], 2
	v_add3_u32 v6, v6, v2, v8
	s_add_u32 s2, s0, s2
	s_mul_i32 s0, s6, s13
	s_mul_hi_u32 s4, s6, s12
	s_addc_u32 s3, s1, s3
	s_add_i32 s0, s4, s0
	s_mul_i32 s1, s7, s12
	v_add3_u32 v1, v1, v4, v9
	s_add_i32 s1, s0, s1
	s_mul_i32 s0, s6, s12
	v_lshlrev_b64 v[2:3], 2, v[5:6]
	s_lshl_b64 s[0:1], s[0:1], 2
	v_lshlrev_b64 v[0:1], 2, v[0:1]
	s_add_u32 s0, s2, s0
	s_addc_u32 s1, s3, s1
	s_delay_alu instid0(VALU_DEP_2) | instskip(SKIP_1) | instid1(VALU_DEP_2)
	v_add_co_u32 v2, vcc_lo, s0, v2
	v_add_co_ci_u32_e32 v3, vcc_lo, s1, v3, vcc_lo
	v_add_co_u32 v0, vcc_lo, v2, v0
	s_delay_alu instid0(VALU_DEP_2)
	v_add_co_ci_u32_e32 v1, vcc_lo, v3, v1, vcc_lo
	s_waitcnt vmcnt(0)
	global_store_b32 v[0:1], v7, off
.LBB29_6:
	s_nop 0
	s_sendmsg sendmsg(MSG_DEALLOC_VGPRS)
	s_endpgm
.LBB29_7:
                                        ; implicit-def: $sgpr16_sgpr17
	s_lshr_b32 s3, s18, 16
	s_branch .LBB29_2
	.section	.rodata,"a",@progbits
	.p2align	6, 0x0
	.amdhsa_kernel _ZN2at6native31max_unpooling3d_backward_kernelIiEEvPKT_lllN5torch10headeronly6detail27GenericPackedTensorAccessorINS7_14TensorAccessorIN3c108ArrayRefIlEElLm3ENS6_16DefaultPtrTraitsElEENS_6detail16IndexBoundsCheckILm4ElEElLm4ESD_lEENS8_INS9_ISC_S2_Lm3ESD_lEESH_S2_Lm4ESD_lEEi
		.amdhsa_group_segment_fixed_size 0
		.amdhsa_private_segment_fixed_size 0
		.amdhsa_kernarg_size 440
		.amdhsa_user_sgpr_count 13
		.amdhsa_user_sgpr_dispatch_ptr 0
		.amdhsa_user_sgpr_queue_ptr 0
		.amdhsa_user_sgpr_kernarg_segment_ptr 1
		.amdhsa_user_sgpr_dispatch_id 0
		.amdhsa_user_sgpr_private_segment_size 0
		.amdhsa_wavefront_size32 1
		.amdhsa_uses_dynamic_stack 0
		.amdhsa_enable_private_segment 0
		.amdhsa_system_sgpr_workgroup_id_x 1
		.amdhsa_system_sgpr_workgroup_id_y 1
		.amdhsa_system_sgpr_workgroup_id_z 1
		.amdhsa_system_sgpr_workgroup_info 0
		.amdhsa_system_vgpr_workitem_id 1
		.amdhsa_next_free_vgpr 12
		.amdhsa_next_free_sgpr 24
		.amdhsa_reserve_vcc 1
		.amdhsa_float_round_mode_32 0
		.amdhsa_float_round_mode_16_64 0
		.amdhsa_float_denorm_mode_32 3
		.amdhsa_float_denorm_mode_16_64 3
		.amdhsa_dx10_clamp 1
		.amdhsa_ieee_mode 1
		.amdhsa_fp16_overflow 0
		.amdhsa_workgroup_processor_mode 1
		.amdhsa_memory_ordered 1
		.amdhsa_forward_progress 0
		.amdhsa_shared_vgpr_count 0
		.amdhsa_exception_fp_ieee_invalid_op 0
		.amdhsa_exception_fp_denorm_src 0
		.amdhsa_exception_fp_ieee_div_zero 0
		.amdhsa_exception_fp_ieee_overflow 0
		.amdhsa_exception_fp_ieee_underflow 0
		.amdhsa_exception_fp_ieee_inexact 0
		.amdhsa_exception_int_div_zero 0
	.end_amdhsa_kernel
	.section	.text._ZN2at6native31max_unpooling3d_backward_kernelIiEEvPKT_lllN5torch10headeronly6detail27GenericPackedTensorAccessorINS7_14TensorAccessorIN3c108ArrayRefIlEElLm3ENS6_16DefaultPtrTraitsElEENS_6detail16IndexBoundsCheckILm4ElEElLm4ESD_lEENS8_INS9_ISC_S2_Lm3ESD_lEESH_S2_Lm4ESD_lEEi,"axG",@progbits,_ZN2at6native31max_unpooling3d_backward_kernelIiEEvPKT_lllN5torch10headeronly6detail27GenericPackedTensorAccessorINS7_14TensorAccessorIN3c108ArrayRefIlEElLm3ENS6_16DefaultPtrTraitsElEENS_6detail16IndexBoundsCheckILm4ElEElLm4ESD_lEENS8_INS9_ISC_S2_Lm3ESD_lEESH_S2_Lm4ESD_lEEi,comdat
.Lfunc_end29:
	.size	_ZN2at6native31max_unpooling3d_backward_kernelIiEEvPKT_lllN5torch10headeronly6detail27GenericPackedTensorAccessorINS7_14TensorAccessorIN3c108ArrayRefIlEElLm3ENS6_16DefaultPtrTraitsElEENS_6detail16IndexBoundsCheckILm4ElEElLm4ESD_lEENS8_INS9_ISC_S2_Lm3ESD_lEESH_S2_Lm4ESD_lEEi, .Lfunc_end29-_ZN2at6native31max_unpooling3d_backward_kernelIiEEvPKT_lllN5torch10headeronly6detail27GenericPackedTensorAccessorINS7_14TensorAccessorIN3c108ArrayRefIlEElLm3ENS6_16DefaultPtrTraitsElEENS_6detail16IndexBoundsCheckILm4ElEElLm4ESD_lEENS8_INS9_ISC_S2_Lm3ESD_lEESH_S2_Lm4ESD_lEEi
                                        ; -- End function
	.section	.AMDGPU.csdata,"",@progbits
; Kernel info:
; codeLenInByte = 1508
; NumSgprs: 26
; NumVgprs: 12
; ScratchSize: 0
; MemoryBound: 0
; FloatMode: 240
; IeeeMode: 1
; LDSByteSize: 0 bytes/workgroup (compile time only)
; SGPRBlocks: 3
; VGPRBlocks: 1
; NumSGPRsForWavesPerEU: 26
; NumVGPRsForWavesPerEU: 12
; Occupancy: 16
; WaveLimiterHint : 1
; COMPUTE_PGM_RSRC2:SCRATCH_EN: 0
; COMPUTE_PGM_RSRC2:USER_SGPR: 13
; COMPUTE_PGM_RSRC2:TRAP_HANDLER: 0
; COMPUTE_PGM_RSRC2:TGID_X_EN: 1
; COMPUTE_PGM_RSRC2:TGID_Y_EN: 1
; COMPUTE_PGM_RSRC2:TGID_Z_EN: 1
; COMPUTE_PGM_RSRC2:TIDIG_COMP_CNT: 1
	.section	.text._ZN2at6native31max_unpooling3d_backward_kernelIlEEvPKT_lllN5torch10headeronly6detail27GenericPackedTensorAccessorINS7_14TensorAccessorIN3c108ArrayRefIlEElLm3ENS6_16DefaultPtrTraitsElEENS_6detail16IndexBoundsCheckILm4ElEElLm4ESD_lEENS8_INS9_ISC_S2_Lm3ESD_lEESH_S2_Lm4ESD_lEEi,"axG",@progbits,_ZN2at6native31max_unpooling3d_backward_kernelIlEEvPKT_lllN5torch10headeronly6detail27GenericPackedTensorAccessorINS7_14TensorAccessorIN3c108ArrayRefIlEElLm3ENS6_16DefaultPtrTraitsElEENS_6detail16IndexBoundsCheckILm4ElEElLm4ESD_lEENS8_INS9_ISC_S2_Lm3ESD_lEESH_S2_Lm4ESD_lEEi,comdat
	.protected	_ZN2at6native31max_unpooling3d_backward_kernelIlEEvPKT_lllN5torch10headeronly6detail27GenericPackedTensorAccessorINS7_14TensorAccessorIN3c108ArrayRefIlEElLm3ENS6_16DefaultPtrTraitsElEENS_6detail16IndexBoundsCheckILm4ElEElLm4ESD_lEENS8_INS9_ISC_S2_Lm3ESD_lEESH_S2_Lm4ESD_lEEi ; -- Begin function _ZN2at6native31max_unpooling3d_backward_kernelIlEEvPKT_lllN5torch10headeronly6detail27GenericPackedTensorAccessorINS7_14TensorAccessorIN3c108ArrayRefIlEElLm3ENS6_16DefaultPtrTraitsElEENS_6detail16IndexBoundsCheckILm4ElEElLm4ESD_lEENS8_INS9_ISC_S2_Lm3ESD_lEESH_S2_Lm4ESD_lEEi
	.globl	_ZN2at6native31max_unpooling3d_backward_kernelIlEEvPKT_lllN5torch10headeronly6detail27GenericPackedTensorAccessorINS7_14TensorAccessorIN3c108ArrayRefIlEElLm3ENS6_16DefaultPtrTraitsElEENS_6detail16IndexBoundsCheckILm4ElEElLm4ESD_lEENS8_INS9_ISC_S2_Lm3ESD_lEESH_S2_Lm4ESD_lEEi
	.p2align	8
	.type	_ZN2at6native31max_unpooling3d_backward_kernelIlEEvPKT_lllN5torch10headeronly6detail27GenericPackedTensorAccessorINS7_14TensorAccessorIN3c108ArrayRefIlEElLm3ENS6_16DefaultPtrTraitsElEENS_6detail16IndexBoundsCheckILm4ElEElLm4ESD_lEENS8_INS9_ISC_S2_Lm3ESD_lEESH_S2_Lm4ESD_lEEi,@function
_ZN2at6native31max_unpooling3d_backward_kernelIlEEvPKT_lllN5torch10headeronly6detail27GenericPackedTensorAccessorINS7_14TensorAccessorIN3c108ArrayRefIlEElLm3ENS6_16DefaultPtrTraitsElEENS_6detail16IndexBoundsCheckILm4ElEElLm4ESD_lEENS8_INS9_ISC_S2_Lm3ESD_lEESH_S2_Lm4ESD_lEEi: ; @_ZN2at6native31max_unpooling3d_backward_kernelIlEEvPKT_lllN5torch10headeronly6detail27GenericPackedTensorAccessorINS7_14TensorAccessorIN3c108ArrayRefIlEElLm3ENS6_16DefaultPtrTraitsElEENS_6detail16IndexBoundsCheckILm4ElEElLm4ESD_lEENS8_INS9_ISC_S2_Lm3ESD_lEESH_S2_Lm4ESD_lEEi
; %bb.0:
	s_clause 0x2
	s_load_b64 s[2:3], s[0:1], 0x78
	s_load_b32 s8, s[0:1], 0xb0
	s_load_b32 s18, s[0:1], 0xc4
	s_add_u32 s4, s0, 0xb8
	s_mov_b32 s6, 0
	s_addc_u32 s5, s1, 0
	s_waitcnt lgkmcnt(0)
	s_mov_b32 s7, s3
	s_add_i32 s12, s15, s8
	s_cmp_lg_u64 s[6:7], 0
	s_cbranch_scc0 .LBB30_7
; %bb.1:
	s_ashr_i32 s8, s3, 31
	s_delay_alu instid0(SALU_CYCLE_1) | instskip(SKIP_2) | instid1(SALU_CYCLE_1)
	s_add_u32 s10, s2, s8
	s_mov_b32 s9, s8
	s_addc_u32 s11, s3, s8
	s_xor_b64 s[10:11], s[10:11], s[8:9]
	s_delay_alu instid0(SALU_CYCLE_1) | instskip(SKIP_3) | instid1(VALU_DEP_1)
	v_cvt_f32_u32_e32 v1, s10
	v_cvt_f32_u32_e32 v2, s11
	s_sub_u32 s15, 0, s10
	s_subb_u32 s16, 0, s11
	v_fmamk_f32 v1, v2, 0x4f800000, v1
	s_delay_alu instid0(VALU_DEP_1) | instskip(SKIP_2) | instid1(VALU_DEP_1)
	v_rcp_f32_e32 v1, v1
	s_waitcnt_depctr 0xfff
	v_mul_f32_e32 v1, 0x5f7ffffc, v1
	v_mul_f32_e32 v2, 0x2f800000, v1
	s_delay_alu instid0(VALU_DEP_1) | instskip(NEXT) | instid1(VALU_DEP_1)
	v_trunc_f32_e32 v2, v2
	v_fmamk_f32 v1, v2, 0xcf800000, v1
	v_cvt_u32_f32_e32 v2, v2
	s_delay_alu instid0(VALU_DEP_2) | instskip(NEXT) | instid1(VALU_DEP_2)
	v_cvt_u32_f32_e32 v1, v1
	v_readfirstlane_b32 s3, v2
	s_delay_alu instid0(VALU_DEP_2) | instskip(NEXT) | instid1(VALU_DEP_2)
	v_readfirstlane_b32 s7, v1
	s_mul_i32 s17, s15, s3
	s_delay_alu instid0(VALU_DEP_1)
	s_mul_hi_u32 s20, s15, s7
	s_mul_i32 s19, s16, s7
	s_add_i32 s17, s20, s17
	s_mul_i32 s21, s15, s7
	s_add_i32 s17, s17, s19
	s_mul_hi_u32 s20, s7, s21
	s_mul_hi_u32 s22, s3, s21
	s_mul_i32 s19, s3, s21
	s_mul_hi_u32 s21, s7, s17
	s_mul_i32 s7, s7, s17
	s_mul_hi_u32 s23, s3, s17
	s_add_u32 s7, s20, s7
	s_addc_u32 s20, 0, s21
	s_add_u32 s7, s7, s19
	s_mul_i32 s17, s3, s17
	s_addc_u32 s7, s20, s22
	s_addc_u32 s19, s23, 0
	s_add_u32 s7, s7, s17
	s_addc_u32 s17, 0, s19
	v_add_co_u32 v1, s7, v1, s7
	s_delay_alu instid0(VALU_DEP_1) | instskip(SKIP_1) | instid1(VALU_DEP_1)
	s_cmp_lg_u32 s7, 0
	s_addc_u32 s3, s3, s17
	v_readfirstlane_b32 s7, v1
	s_mul_i32 s17, s15, s3
	s_delay_alu instid0(VALU_DEP_1)
	s_mul_hi_u32 s19, s15, s7
	s_mul_i32 s16, s16, s7
	s_add_i32 s17, s19, s17
	s_mul_i32 s15, s15, s7
	s_add_i32 s17, s17, s16
	s_mul_hi_u32 s19, s3, s15
	s_mul_i32 s20, s3, s15
	s_mul_hi_u32 s15, s7, s15
	s_mul_hi_u32 s21, s7, s17
	s_mul_i32 s7, s7, s17
	s_mul_hi_u32 s16, s3, s17
	s_add_u32 s7, s15, s7
	s_addc_u32 s15, 0, s21
	s_add_u32 s7, s7, s20
	s_mul_i32 s17, s3, s17
	s_addc_u32 s7, s15, s19
	s_addc_u32 s15, s16, 0
	s_add_u32 s7, s7, s17
	s_addc_u32 s15, 0, s15
	v_add_co_u32 v1, s7, v1, s7
	s_delay_alu instid0(VALU_DEP_1) | instskip(SKIP_1) | instid1(VALU_DEP_1)
	s_cmp_lg_u32 s7, 0
	s_addc_u32 s3, s3, s15
	v_readfirstlane_b32 s7, v1
	s_mul_i32 s15, s12, s3
	s_mul_hi_u32 s3, s12, s3
	s_delay_alu instid0(VALU_DEP_1) | instskip(NEXT) | instid1(SALU_CYCLE_1)
	s_mul_hi_u32 s7, s12, s7
	s_add_u32 s7, s7, s15
	s_addc_u32 s3, 0, s3
	s_add_u32 s7, s7, 0
	s_addc_u32 s3, s3, 0
	s_addc_u32 s7, 0, 0
	s_add_u32 s3, s3, 0
	s_addc_u32 s7, 0, s7
	s_mul_hi_u32 s15, s10, s3
	s_mul_i32 s17, s10, s7
	s_mul_i32 s19, s10, s3
	s_add_i32 s15, s15, s17
	v_sub_co_u32 v1, s17, s12, s19
	s_mul_i32 s16, s11, s3
	s_delay_alu instid0(SALU_CYCLE_1) | instskip(NEXT) | instid1(VALU_DEP_1)
	s_add_i32 s15, s15, s16
	v_sub_co_u32 v2, s19, v1, s10
	s_sub_i32 s16, 0, s15
	s_cmp_lg_u32 s17, 0
	s_subb_u32 s16, s16, s11
	s_cmp_lg_u32 s19, 0
	v_readfirstlane_b32 s19, v2
	s_subb_u32 s16, s16, 0
	s_delay_alu instid0(SALU_CYCLE_1) | instskip(SKIP_1) | instid1(VALU_DEP_1)
	s_cmp_ge_u32 s16, s11
	s_cselect_b32 s20, -1, 0
	s_cmp_ge_u32 s19, s10
	s_cselect_b32 s19, -1, 0
	s_cmp_eq_u32 s16, s11
	s_cselect_b32 s16, s19, s20
	s_add_u32 s19, s3, 1
	s_addc_u32 s20, s7, 0
	s_add_u32 s21, s3, 2
	s_addc_u32 s22, s7, 0
	s_cmp_lg_u32 s16, 0
	s_cselect_b32 s16, s21, s19
	s_cselect_b32 s19, s22, s20
	s_cmp_lg_u32 s17, 0
	v_readfirstlane_b32 s17, v1
	s_subb_u32 s15, 0, s15
	s_delay_alu instid0(SALU_CYCLE_1) | instskip(SKIP_1) | instid1(VALU_DEP_1)
	s_cmp_ge_u32 s15, s11
	s_cselect_b32 s20, -1, 0
	s_cmp_ge_u32 s17, s10
	s_cselect_b32 s10, -1, 0
	s_cmp_eq_u32 s15, s11
	s_cselect_b32 s10, s10, s20
	s_delay_alu instid0(SALU_CYCLE_1) | instskip(SKIP_2) | instid1(SALU_CYCLE_1)
	s_cmp_lg_u32 s10, 0
	s_cselect_b32 s11, s19, s7
	s_cselect_b32 s10, s16, s3
	s_xor_b64 s[10:11], s[10:11], s[8:9]
	s_delay_alu instid0(SALU_CYCLE_1)
	s_sub_u32 s16, s10, s8
	s_subb_u32 s17, s11, s8
	s_and_not1_b32 vcc_lo, exec_lo, s6
	s_lshr_b32 s3, s18, 16
	s_cbranch_vccnz .LBB30_3
.LBB30_2:
	v_cvt_f32_u32_e32 v1, s2
	s_sub_i32 s7, 0, s2
	s_mov_b32 s17, 0
	s_delay_alu instid0(VALU_DEP_1) | instskip(SKIP_2) | instid1(VALU_DEP_1)
	v_rcp_iflag_f32_e32 v1, v1
	s_waitcnt_depctr 0xfff
	v_mul_f32_e32 v1, 0x4f7ffffe, v1
	v_cvt_u32_f32_e32 v1, v1
	s_delay_alu instid0(VALU_DEP_1) | instskip(NEXT) | instid1(VALU_DEP_1)
	v_readfirstlane_b32 s6, v1
	s_mul_i32 s7, s7, s6
	s_delay_alu instid0(SALU_CYCLE_1) | instskip(NEXT) | instid1(SALU_CYCLE_1)
	s_mul_hi_u32 s7, s6, s7
	s_add_i32 s6, s6, s7
	s_delay_alu instid0(SALU_CYCLE_1) | instskip(NEXT) | instid1(SALU_CYCLE_1)
	s_mul_hi_u32 s6, s12, s6
	s_mul_i32 s7, s6, s2
	s_add_i32 s8, s6, 1
	s_sub_i32 s7, s12, s7
	s_delay_alu instid0(SALU_CYCLE_1)
	s_sub_i32 s9, s7, s2
	s_cmp_ge_u32 s7, s2
	s_cselect_b32 s6, s8, s6
	s_cselect_b32 s7, s9, s7
	s_add_i32 s8, s6, 1
	s_cmp_ge_u32 s7, s2
	s_cselect_b32 s16, s8, s6
.LBB30_3:
	s_load_b64 s[6:7], s[0:1], 0x80
	v_bfe_u32 v3, v0, 10, 10
	s_and_b32 s3, 0xffff, s3
	s_delay_alu instid0(VALU_DEP_1) | instid1(SALU_CYCLE_1)
	v_mad_u64_u32 v[1:2], null, s14, s3, v[3:4]
	s_mov_b32 s3, exec_lo
	s_delay_alu instid0(VALU_DEP_1) | instskip(SKIP_1) | instid1(VALU_DEP_1)
	v_ashrrev_i32_e32 v2, 31, v1
	s_waitcnt lgkmcnt(0)
	v_cmpx_gt_i64_e64 s[6:7], v[1:2]
	s_cbranch_execz .LBB30_6
; %bb.4:
	s_load_b32 s3, s[4:5], 0xc
	s_load_b64 s[4:5], s[0:1], 0x88
	v_and_b32_e32 v0, 0x3ff, v0
	s_waitcnt lgkmcnt(0)
	s_and_b32 s3, s3, 0xffff
	s_delay_alu instid0(VALU_DEP_1) | instid1(SALU_CYCLE_1)
	v_mad_u64_u32 v[3:4], null, s13, s3, v[0:1]
	s_delay_alu instid0(VALU_DEP_1) | instskip(NEXT) | instid1(VALU_DEP_1)
	v_ashrrev_i32_e32 v4, 31, v3
	v_cmp_gt_i64_e32 vcc_lo, s[4:5], v[3:4]
	s_and_b32 exec_lo, exec_lo, vcc_lo
	s_cbranch_execz .LBB30_6
; %bb.5:
	s_clause 0x1
	s_load_b256 s[4:11], s[0:1], 0x48
	s_load_b64 s[14:15], s[0:1], 0x20
	s_mul_i32 s13, s16, s2
	s_bfe_i64 s[2:3], s[16:17], 0x200000
	s_sub_i32 s12, s12, s13
	s_waitcnt lgkmcnt(0)
	s_mul_i32 s2, s4, s3
	s_mul_hi_u32 s13, s4, s16
	s_mul_i32 s5, s5, s16
	v_mul_lo_u32 v0, s9, v1
	v_mul_lo_u32 v9, s8, v2
	v_mad_u64_u32 v[5:6], null, s8, v1, 0
	s_add_i32 s2, s13, s2
	s_mul_i32 s4, s4, s16
	s_add_i32 s5, s2, s5
	v_mul_lo_u32 v10, s11, v3
	s_lshl_b64 s[4:5], s[4:5], 3
	v_mul_lo_u32 v11, s10, v4
	v_mad_u64_u32 v[7:8], null, s10, v3, 0
	s_mul_i32 s2, s7, s12
	s_add_u32 s7, s14, s4
	s_addc_u32 s8, s15, s5
	s_ashr_i32 s13, s12, 31
	v_add3_u32 v6, v6, v9, v0
	s_mul_hi_u32 s17, s6, s12
	s_mul_i32 s4, s6, s13
	v_add3_u32 v8, v8, v11, v10
	s_add_i32 s5, s17, s4
	s_mul_i32 s4, s6, s12
	s_add_i32 s5, s5, s2
	v_lshlrev_b64 v[5:6], 3, v[5:6]
	s_lshl_b64 s[4:5], s[4:5], 3
	v_lshlrev_b64 v[7:8], 3, v[7:8]
	s_add_u32 s2, s7, s4
	s_addc_u32 s4, s8, s5
	s_delay_alu instid0(VALU_DEP_2) | instskip(SKIP_2) | instid1(VALU_DEP_2)
	v_add_co_u32 v0, vcc_lo, s2, v5
	v_add_co_ci_u32_e32 v6, vcc_lo, s4, v6, vcc_lo
	s_load_b256 s[4:11], s[0:1], 0x0
	v_add_co_u32 v5, vcc_lo, v0, v7
	s_delay_alu instid0(VALU_DEP_2)
	v_add_co_ci_u32_e32 v6, vcc_lo, v6, v8, vcc_lo
	global_load_b64 v[5:6], v[5:6], off
	s_waitcnt lgkmcnt(0)
	s_mul_i32 s2, s8, s7
	s_mul_hi_u32 s7, s8, s6
	s_mul_i32 s8, s8, s6
	s_mul_i32 s6, s9, s6
	s_add_i32 s2, s7, s2
	s_mul_i32 s9, s8, s11
	s_mul_hi_u32 s11, s8, s10
	s_add_i32 s2, s2, s6
	s_mul_i32 s8, s8, s10
	s_add_i32 s6, s11, s9
	s_mul_i32 s2, s2, s10
	s_mul_i32 s7, s8, s3
	s_mul_hi_u32 s9, s8, s16
	s_add_i32 s2, s6, s2
	s_add_i32 s7, s9, s7
	s_mul_i32 s2, s2, s16
	s_mul_i32 s6, s8, s16
	s_add_i32 s7, s7, s2
	s_delay_alu instid0(SALU_CYCLE_1) | instskip(NEXT) | instid1(SALU_CYCLE_1)
	s_lshl_b64 s[6:7], s[6:7], 3
	s_add_u32 s2, s4, s6
	s_addc_u32 s4, s5, s7
	s_waitcnt vmcnt(0)
	v_lshlrev_b64 v[5:6], 3, v[5:6]
	s_delay_alu instid0(VALU_DEP_1) | instskip(NEXT) | instid1(VALU_DEP_2)
	v_add_co_u32 v5, vcc_lo, s2, v5
	v_add_co_ci_u32_e32 v6, vcc_lo, s4, v6, vcc_lo
	global_load_b64 v[5:6], v[5:6], off
	s_clause 0x1
	s_load_b256 s[4:11], s[0:1], 0x90
	s_load_b64 s[0:1], s[0:1], 0x68
	s_waitcnt lgkmcnt(0)
	v_mul_lo_u32 v9, s9, v1
	v_mul_lo_u32 v2, s8, v2
	v_mad_u64_u32 v[7:8], null, s8, v1, 0
	s_mul_i32 s2, s4, s3
	s_mul_hi_u32 s3, s4, s16
	v_mul_lo_u32 v10, s11, v3
	s_add_i32 s2, s3, s2
	s_mul_i32 s3, s5, s16
	v_mul_lo_u32 v4, s10, v4
	s_add_i32 s3, s2, s3
	s_mul_i32 s2, s4, s16
	v_mad_u64_u32 v[0:1], null, s10, v3, 0
	s_lshl_b64 s[2:3], s[2:3], 3
	v_add3_u32 v8, v8, v2, v9
	s_add_u32 s2, s0, s2
	s_mul_i32 s0, s6, s13
	s_mul_hi_u32 s4, s6, s12
	s_addc_u32 s3, s1, s3
	s_add_i32 s0, s4, s0
	s_mul_i32 s1, s7, s12
	v_add3_u32 v1, v1, v4, v10
	s_add_i32 s1, s0, s1
	s_mul_i32 s0, s6, s12
	v_lshlrev_b64 v[2:3], 3, v[7:8]
	s_lshl_b64 s[0:1], s[0:1], 3
	v_lshlrev_b64 v[0:1], 3, v[0:1]
	s_add_u32 s0, s2, s0
	s_addc_u32 s1, s3, s1
	s_delay_alu instid0(VALU_DEP_2) | instskip(SKIP_1) | instid1(VALU_DEP_2)
	v_add_co_u32 v2, vcc_lo, s0, v2
	v_add_co_ci_u32_e32 v3, vcc_lo, s1, v3, vcc_lo
	v_add_co_u32 v0, vcc_lo, v2, v0
	s_delay_alu instid0(VALU_DEP_2)
	v_add_co_ci_u32_e32 v1, vcc_lo, v3, v1, vcc_lo
	s_waitcnt vmcnt(0)
	global_store_b64 v[0:1], v[5:6], off
.LBB30_6:
	s_nop 0
	s_sendmsg sendmsg(MSG_DEALLOC_VGPRS)
	s_endpgm
.LBB30_7:
                                        ; implicit-def: $sgpr16_sgpr17
	s_lshr_b32 s3, s18, 16
	s_branch .LBB30_2
	.section	.rodata,"a",@progbits
	.p2align	6, 0x0
	.amdhsa_kernel _ZN2at6native31max_unpooling3d_backward_kernelIlEEvPKT_lllN5torch10headeronly6detail27GenericPackedTensorAccessorINS7_14TensorAccessorIN3c108ArrayRefIlEElLm3ENS6_16DefaultPtrTraitsElEENS_6detail16IndexBoundsCheckILm4ElEElLm4ESD_lEENS8_INS9_ISC_S2_Lm3ESD_lEESH_S2_Lm4ESD_lEEi
		.amdhsa_group_segment_fixed_size 0
		.amdhsa_private_segment_fixed_size 0
		.amdhsa_kernarg_size 440
		.amdhsa_user_sgpr_count 13
		.amdhsa_user_sgpr_dispatch_ptr 0
		.amdhsa_user_sgpr_queue_ptr 0
		.amdhsa_user_sgpr_kernarg_segment_ptr 1
		.amdhsa_user_sgpr_dispatch_id 0
		.amdhsa_user_sgpr_private_segment_size 0
		.amdhsa_wavefront_size32 1
		.amdhsa_uses_dynamic_stack 0
		.amdhsa_enable_private_segment 0
		.amdhsa_system_sgpr_workgroup_id_x 1
		.amdhsa_system_sgpr_workgroup_id_y 1
		.amdhsa_system_sgpr_workgroup_id_z 1
		.amdhsa_system_sgpr_workgroup_info 0
		.amdhsa_system_vgpr_workitem_id 1
		.amdhsa_next_free_vgpr 12
		.amdhsa_next_free_sgpr 24
		.amdhsa_reserve_vcc 1
		.amdhsa_float_round_mode_32 0
		.amdhsa_float_round_mode_16_64 0
		.amdhsa_float_denorm_mode_32 3
		.amdhsa_float_denorm_mode_16_64 3
		.amdhsa_dx10_clamp 1
		.amdhsa_ieee_mode 1
		.amdhsa_fp16_overflow 0
		.amdhsa_workgroup_processor_mode 1
		.amdhsa_memory_ordered 1
		.amdhsa_forward_progress 0
		.amdhsa_shared_vgpr_count 0
		.amdhsa_exception_fp_ieee_invalid_op 0
		.amdhsa_exception_fp_denorm_src 0
		.amdhsa_exception_fp_ieee_div_zero 0
		.amdhsa_exception_fp_ieee_overflow 0
		.amdhsa_exception_fp_ieee_underflow 0
		.amdhsa_exception_fp_ieee_inexact 0
		.amdhsa_exception_int_div_zero 0
	.end_amdhsa_kernel
	.section	.text._ZN2at6native31max_unpooling3d_backward_kernelIlEEvPKT_lllN5torch10headeronly6detail27GenericPackedTensorAccessorINS7_14TensorAccessorIN3c108ArrayRefIlEElLm3ENS6_16DefaultPtrTraitsElEENS_6detail16IndexBoundsCheckILm4ElEElLm4ESD_lEENS8_INS9_ISC_S2_Lm3ESD_lEESH_S2_Lm4ESD_lEEi,"axG",@progbits,_ZN2at6native31max_unpooling3d_backward_kernelIlEEvPKT_lllN5torch10headeronly6detail27GenericPackedTensorAccessorINS7_14TensorAccessorIN3c108ArrayRefIlEElLm3ENS6_16DefaultPtrTraitsElEENS_6detail16IndexBoundsCheckILm4ElEElLm4ESD_lEENS8_INS9_ISC_S2_Lm3ESD_lEESH_S2_Lm4ESD_lEEi,comdat
.Lfunc_end30:
	.size	_ZN2at6native31max_unpooling3d_backward_kernelIlEEvPKT_lllN5torch10headeronly6detail27GenericPackedTensorAccessorINS7_14TensorAccessorIN3c108ArrayRefIlEElLm3ENS6_16DefaultPtrTraitsElEENS_6detail16IndexBoundsCheckILm4ElEElLm4ESD_lEENS8_INS9_ISC_S2_Lm3ESD_lEESH_S2_Lm4ESD_lEEi, .Lfunc_end30-_ZN2at6native31max_unpooling3d_backward_kernelIlEEvPKT_lllN5torch10headeronly6detail27GenericPackedTensorAccessorINS7_14TensorAccessorIN3c108ArrayRefIlEElLm3ENS6_16DefaultPtrTraitsElEENS_6detail16IndexBoundsCheckILm4ElEElLm4ESD_lEENS8_INS9_ISC_S2_Lm3ESD_lEESH_S2_Lm4ESD_lEEi
                                        ; -- End function
	.section	.AMDGPU.csdata,"",@progbits
; Kernel info:
; codeLenInByte = 1508
; NumSgprs: 26
; NumVgprs: 12
; ScratchSize: 0
; MemoryBound: 0
; FloatMode: 240
; IeeeMode: 1
; LDSByteSize: 0 bytes/workgroup (compile time only)
; SGPRBlocks: 3
; VGPRBlocks: 1
; NumSGPRsForWavesPerEU: 26
; NumVGPRsForWavesPerEU: 12
; Occupancy: 16
; WaveLimiterHint : 1
; COMPUTE_PGM_RSRC2:SCRATCH_EN: 0
; COMPUTE_PGM_RSRC2:USER_SGPR: 13
; COMPUTE_PGM_RSRC2:TRAP_HANDLER: 0
; COMPUTE_PGM_RSRC2:TGID_X_EN: 1
; COMPUTE_PGM_RSRC2:TGID_Y_EN: 1
; COMPUTE_PGM_RSRC2:TGID_Z_EN: 1
; COMPUTE_PGM_RSRC2:TIDIG_COMP_CNT: 1
	.section	.text._ZN2at6native31max_unpooling3d_backward_kernelIsEEvPKT_lllN5torch10headeronly6detail27GenericPackedTensorAccessorINS7_14TensorAccessorIN3c108ArrayRefIlEElLm3ENS6_16DefaultPtrTraitsElEENS_6detail16IndexBoundsCheckILm4ElEElLm4ESD_lEENS8_INS9_ISC_S2_Lm3ESD_lEESH_S2_Lm4ESD_lEEi,"axG",@progbits,_ZN2at6native31max_unpooling3d_backward_kernelIsEEvPKT_lllN5torch10headeronly6detail27GenericPackedTensorAccessorINS7_14TensorAccessorIN3c108ArrayRefIlEElLm3ENS6_16DefaultPtrTraitsElEENS_6detail16IndexBoundsCheckILm4ElEElLm4ESD_lEENS8_INS9_ISC_S2_Lm3ESD_lEESH_S2_Lm4ESD_lEEi,comdat
	.protected	_ZN2at6native31max_unpooling3d_backward_kernelIsEEvPKT_lllN5torch10headeronly6detail27GenericPackedTensorAccessorINS7_14TensorAccessorIN3c108ArrayRefIlEElLm3ENS6_16DefaultPtrTraitsElEENS_6detail16IndexBoundsCheckILm4ElEElLm4ESD_lEENS8_INS9_ISC_S2_Lm3ESD_lEESH_S2_Lm4ESD_lEEi ; -- Begin function _ZN2at6native31max_unpooling3d_backward_kernelIsEEvPKT_lllN5torch10headeronly6detail27GenericPackedTensorAccessorINS7_14TensorAccessorIN3c108ArrayRefIlEElLm3ENS6_16DefaultPtrTraitsElEENS_6detail16IndexBoundsCheckILm4ElEElLm4ESD_lEENS8_INS9_ISC_S2_Lm3ESD_lEESH_S2_Lm4ESD_lEEi
	.globl	_ZN2at6native31max_unpooling3d_backward_kernelIsEEvPKT_lllN5torch10headeronly6detail27GenericPackedTensorAccessorINS7_14TensorAccessorIN3c108ArrayRefIlEElLm3ENS6_16DefaultPtrTraitsElEENS_6detail16IndexBoundsCheckILm4ElEElLm4ESD_lEENS8_INS9_ISC_S2_Lm3ESD_lEESH_S2_Lm4ESD_lEEi
	.p2align	8
	.type	_ZN2at6native31max_unpooling3d_backward_kernelIsEEvPKT_lllN5torch10headeronly6detail27GenericPackedTensorAccessorINS7_14TensorAccessorIN3c108ArrayRefIlEElLm3ENS6_16DefaultPtrTraitsElEENS_6detail16IndexBoundsCheckILm4ElEElLm4ESD_lEENS8_INS9_ISC_S2_Lm3ESD_lEESH_S2_Lm4ESD_lEEi,@function
_ZN2at6native31max_unpooling3d_backward_kernelIsEEvPKT_lllN5torch10headeronly6detail27GenericPackedTensorAccessorINS7_14TensorAccessorIN3c108ArrayRefIlEElLm3ENS6_16DefaultPtrTraitsElEENS_6detail16IndexBoundsCheckILm4ElEElLm4ESD_lEENS8_INS9_ISC_S2_Lm3ESD_lEESH_S2_Lm4ESD_lEEi: ; @_ZN2at6native31max_unpooling3d_backward_kernelIsEEvPKT_lllN5torch10headeronly6detail27GenericPackedTensorAccessorINS7_14TensorAccessorIN3c108ArrayRefIlEElLm3ENS6_16DefaultPtrTraitsElEENS_6detail16IndexBoundsCheckILm4ElEElLm4ESD_lEENS8_INS9_ISC_S2_Lm3ESD_lEESH_S2_Lm4ESD_lEEi
; %bb.0:
	s_clause 0x2
	s_load_b64 s[2:3], s[0:1], 0x78
	s_load_b32 s8, s[0:1], 0xb0
	s_load_b32 s18, s[0:1], 0xc4
	s_add_u32 s4, s0, 0xb8
	s_mov_b32 s6, 0
	s_addc_u32 s5, s1, 0
	s_waitcnt lgkmcnt(0)
	s_mov_b32 s7, s3
	s_add_i32 s12, s15, s8
	s_cmp_lg_u64 s[6:7], 0
	s_cbranch_scc0 .LBB31_7
; %bb.1:
	s_ashr_i32 s8, s3, 31
	s_delay_alu instid0(SALU_CYCLE_1) | instskip(SKIP_2) | instid1(SALU_CYCLE_1)
	s_add_u32 s10, s2, s8
	s_mov_b32 s9, s8
	s_addc_u32 s11, s3, s8
	s_xor_b64 s[10:11], s[10:11], s[8:9]
	s_delay_alu instid0(SALU_CYCLE_1) | instskip(SKIP_3) | instid1(VALU_DEP_1)
	v_cvt_f32_u32_e32 v1, s10
	v_cvt_f32_u32_e32 v2, s11
	s_sub_u32 s15, 0, s10
	s_subb_u32 s16, 0, s11
	v_fmamk_f32 v1, v2, 0x4f800000, v1
	s_delay_alu instid0(VALU_DEP_1) | instskip(SKIP_2) | instid1(VALU_DEP_1)
	v_rcp_f32_e32 v1, v1
	s_waitcnt_depctr 0xfff
	v_mul_f32_e32 v1, 0x5f7ffffc, v1
	v_mul_f32_e32 v2, 0x2f800000, v1
	s_delay_alu instid0(VALU_DEP_1) | instskip(NEXT) | instid1(VALU_DEP_1)
	v_trunc_f32_e32 v2, v2
	v_fmamk_f32 v1, v2, 0xcf800000, v1
	v_cvt_u32_f32_e32 v2, v2
	s_delay_alu instid0(VALU_DEP_2) | instskip(NEXT) | instid1(VALU_DEP_2)
	v_cvt_u32_f32_e32 v1, v1
	v_readfirstlane_b32 s3, v2
	s_delay_alu instid0(VALU_DEP_2) | instskip(NEXT) | instid1(VALU_DEP_2)
	v_readfirstlane_b32 s7, v1
	s_mul_i32 s17, s15, s3
	s_delay_alu instid0(VALU_DEP_1)
	s_mul_hi_u32 s20, s15, s7
	s_mul_i32 s19, s16, s7
	s_add_i32 s17, s20, s17
	s_mul_i32 s21, s15, s7
	s_add_i32 s17, s17, s19
	s_mul_hi_u32 s20, s7, s21
	s_mul_hi_u32 s22, s3, s21
	s_mul_i32 s19, s3, s21
	s_mul_hi_u32 s21, s7, s17
	s_mul_i32 s7, s7, s17
	s_mul_hi_u32 s23, s3, s17
	s_add_u32 s7, s20, s7
	s_addc_u32 s20, 0, s21
	s_add_u32 s7, s7, s19
	s_mul_i32 s17, s3, s17
	s_addc_u32 s7, s20, s22
	s_addc_u32 s19, s23, 0
	s_add_u32 s7, s7, s17
	s_addc_u32 s17, 0, s19
	v_add_co_u32 v1, s7, v1, s7
	s_delay_alu instid0(VALU_DEP_1) | instskip(SKIP_1) | instid1(VALU_DEP_1)
	s_cmp_lg_u32 s7, 0
	s_addc_u32 s3, s3, s17
	v_readfirstlane_b32 s7, v1
	s_mul_i32 s17, s15, s3
	s_delay_alu instid0(VALU_DEP_1)
	s_mul_hi_u32 s19, s15, s7
	s_mul_i32 s16, s16, s7
	s_add_i32 s17, s19, s17
	s_mul_i32 s15, s15, s7
	s_add_i32 s17, s17, s16
	s_mul_hi_u32 s19, s3, s15
	s_mul_i32 s20, s3, s15
	s_mul_hi_u32 s15, s7, s15
	s_mul_hi_u32 s21, s7, s17
	s_mul_i32 s7, s7, s17
	s_mul_hi_u32 s16, s3, s17
	s_add_u32 s7, s15, s7
	s_addc_u32 s15, 0, s21
	s_add_u32 s7, s7, s20
	s_mul_i32 s17, s3, s17
	s_addc_u32 s7, s15, s19
	s_addc_u32 s15, s16, 0
	s_add_u32 s7, s7, s17
	s_addc_u32 s15, 0, s15
	v_add_co_u32 v1, s7, v1, s7
	s_delay_alu instid0(VALU_DEP_1) | instskip(SKIP_1) | instid1(VALU_DEP_1)
	s_cmp_lg_u32 s7, 0
	s_addc_u32 s3, s3, s15
	v_readfirstlane_b32 s7, v1
	s_mul_i32 s15, s12, s3
	s_mul_hi_u32 s3, s12, s3
	s_delay_alu instid0(VALU_DEP_1) | instskip(NEXT) | instid1(SALU_CYCLE_1)
	s_mul_hi_u32 s7, s12, s7
	s_add_u32 s7, s7, s15
	s_addc_u32 s3, 0, s3
	s_add_u32 s7, s7, 0
	s_addc_u32 s3, s3, 0
	s_addc_u32 s7, 0, 0
	s_add_u32 s3, s3, 0
	s_addc_u32 s7, 0, s7
	s_mul_hi_u32 s15, s10, s3
	s_mul_i32 s17, s10, s7
	s_mul_i32 s19, s10, s3
	s_add_i32 s15, s15, s17
	v_sub_co_u32 v1, s17, s12, s19
	s_mul_i32 s16, s11, s3
	s_delay_alu instid0(SALU_CYCLE_1) | instskip(NEXT) | instid1(VALU_DEP_1)
	s_add_i32 s15, s15, s16
	v_sub_co_u32 v2, s19, v1, s10
	s_sub_i32 s16, 0, s15
	s_cmp_lg_u32 s17, 0
	s_subb_u32 s16, s16, s11
	s_cmp_lg_u32 s19, 0
	v_readfirstlane_b32 s19, v2
	s_subb_u32 s16, s16, 0
	s_delay_alu instid0(SALU_CYCLE_1) | instskip(SKIP_1) | instid1(VALU_DEP_1)
	s_cmp_ge_u32 s16, s11
	s_cselect_b32 s20, -1, 0
	s_cmp_ge_u32 s19, s10
	s_cselect_b32 s19, -1, 0
	s_cmp_eq_u32 s16, s11
	s_cselect_b32 s16, s19, s20
	s_add_u32 s19, s3, 1
	s_addc_u32 s20, s7, 0
	s_add_u32 s21, s3, 2
	s_addc_u32 s22, s7, 0
	s_cmp_lg_u32 s16, 0
	s_cselect_b32 s16, s21, s19
	s_cselect_b32 s19, s22, s20
	s_cmp_lg_u32 s17, 0
	v_readfirstlane_b32 s17, v1
	s_subb_u32 s15, 0, s15
	s_delay_alu instid0(SALU_CYCLE_1) | instskip(SKIP_1) | instid1(VALU_DEP_1)
	s_cmp_ge_u32 s15, s11
	s_cselect_b32 s20, -1, 0
	s_cmp_ge_u32 s17, s10
	s_cselect_b32 s10, -1, 0
	s_cmp_eq_u32 s15, s11
	s_cselect_b32 s10, s10, s20
	s_delay_alu instid0(SALU_CYCLE_1) | instskip(SKIP_2) | instid1(SALU_CYCLE_1)
	s_cmp_lg_u32 s10, 0
	s_cselect_b32 s11, s19, s7
	s_cselect_b32 s10, s16, s3
	s_xor_b64 s[10:11], s[10:11], s[8:9]
	s_delay_alu instid0(SALU_CYCLE_1)
	s_sub_u32 s16, s10, s8
	s_subb_u32 s17, s11, s8
	s_and_not1_b32 vcc_lo, exec_lo, s6
	s_lshr_b32 s3, s18, 16
	s_cbranch_vccnz .LBB31_3
.LBB31_2:
	v_cvt_f32_u32_e32 v1, s2
	s_sub_i32 s7, 0, s2
	s_mov_b32 s17, 0
	s_delay_alu instid0(VALU_DEP_1) | instskip(SKIP_2) | instid1(VALU_DEP_1)
	v_rcp_iflag_f32_e32 v1, v1
	s_waitcnt_depctr 0xfff
	v_mul_f32_e32 v1, 0x4f7ffffe, v1
	v_cvt_u32_f32_e32 v1, v1
	s_delay_alu instid0(VALU_DEP_1) | instskip(NEXT) | instid1(VALU_DEP_1)
	v_readfirstlane_b32 s6, v1
	s_mul_i32 s7, s7, s6
	s_delay_alu instid0(SALU_CYCLE_1) | instskip(NEXT) | instid1(SALU_CYCLE_1)
	s_mul_hi_u32 s7, s6, s7
	s_add_i32 s6, s6, s7
	s_delay_alu instid0(SALU_CYCLE_1) | instskip(NEXT) | instid1(SALU_CYCLE_1)
	s_mul_hi_u32 s6, s12, s6
	s_mul_i32 s7, s6, s2
	s_add_i32 s8, s6, 1
	s_sub_i32 s7, s12, s7
	s_delay_alu instid0(SALU_CYCLE_1)
	s_sub_i32 s9, s7, s2
	s_cmp_ge_u32 s7, s2
	s_cselect_b32 s6, s8, s6
	s_cselect_b32 s7, s9, s7
	s_add_i32 s8, s6, 1
	s_cmp_ge_u32 s7, s2
	s_cselect_b32 s16, s8, s6
.LBB31_3:
	s_load_b64 s[6:7], s[0:1], 0x80
	v_bfe_u32 v3, v0, 10, 10
	s_and_b32 s3, 0xffff, s3
	s_delay_alu instid0(VALU_DEP_1) | instid1(SALU_CYCLE_1)
	v_mad_u64_u32 v[1:2], null, s14, s3, v[3:4]
	s_mov_b32 s3, exec_lo
	s_delay_alu instid0(VALU_DEP_1) | instskip(SKIP_1) | instid1(VALU_DEP_1)
	v_ashrrev_i32_e32 v2, 31, v1
	s_waitcnt lgkmcnt(0)
	v_cmpx_gt_i64_e64 s[6:7], v[1:2]
	s_cbranch_execz .LBB31_6
; %bb.4:
	s_load_b32 s3, s[4:5], 0xc
	s_load_b64 s[4:5], s[0:1], 0x88
	v_and_b32_e32 v0, 0x3ff, v0
	s_waitcnt lgkmcnt(0)
	s_and_b32 s3, s3, 0xffff
	s_delay_alu instid0(VALU_DEP_1) | instid1(SALU_CYCLE_1)
	v_mad_u64_u32 v[3:4], null, s13, s3, v[0:1]
	s_delay_alu instid0(VALU_DEP_1) | instskip(NEXT) | instid1(VALU_DEP_1)
	v_ashrrev_i32_e32 v4, 31, v3
	v_cmp_gt_i64_e32 vcc_lo, s[4:5], v[3:4]
	s_and_b32 exec_lo, exec_lo, vcc_lo
	s_cbranch_execz .LBB31_6
; %bb.5:
	s_clause 0x1
	s_load_b256 s[4:11], s[0:1], 0x48
	s_load_b64 s[14:15], s[0:1], 0x20
	s_mul_i32 s13, s16, s2
	s_bfe_i64 s[2:3], s[16:17], 0x200000
	s_sub_i32 s12, s12, s13
	s_waitcnt lgkmcnt(0)
	s_mul_i32 s2, s4, s3
	s_mul_hi_u32 s13, s4, s16
	s_mul_i32 s5, s5, s16
	v_mul_lo_u32 v0, s9, v1
	v_mul_lo_u32 v9, s8, v2
	v_mad_u64_u32 v[5:6], null, s8, v1, 0
	s_add_i32 s2, s13, s2
	s_mul_i32 s4, s4, s16
	s_add_i32 s5, s2, s5
	v_mul_lo_u32 v10, s11, v3
	s_lshl_b64 s[4:5], s[4:5], 3
	v_mul_lo_u32 v11, s10, v4
	v_mad_u64_u32 v[7:8], null, s10, v3, 0
	s_mul_i32 s2, s7, s12
	s_add_u32 s7, s14, s4
	s_addc_u32 s8, s15, s5
	s_ashr_i32 s13, s12, 31
	v_add3_u32 v6, v6, v9, v0
	s_mul_hi_u32 s17, s6, s12
	s_mul_i32 s4, s6, s13
	v_add3_u32 v8, v8, v11, v10
	s_add_i32 s5, s17, s4
	s_mul_i32 s4, s6, s12
	s_add_i32 s5, s5, s2
	v_lshlrev_b64 v[5:6], 3, v[5:6]
	s_lshl_b64 s[4:5], s[4:5], 3
	v_lshlrev_b64 v[7:8], 3, v[7:8]
	s_add_u32 s2, s7, s4
	s_addc_u32 s4, s8, s5
	s_delay_alu instid0(VALU_DEP_2) | instskip(SKIP_2) | instid1(VALU_DEP_2)
	v_add_co_u32 v0, vcc_lo, s2, v5
	v_add_co_ci_u32_e32 v6, vcc_lo, s4, v6, vcc_lo
	s_load_b256 s[4:11], s[0:1], 0x0
	v_add_co_u32 v5, vcc_lo, v0, v7
	s_delay_alu instid0(VALU_DEP_2)
	v_add_co_ci_u32_e32 v6, vcc_lo, v6, v8, vcc_lo
	global_load_b64 v[5:6], v[5:6], off
	s_waitcnt lgkmcnt(0)
	s_mul_i32 s2, s8, s7
	s_mul_hi_u32 s7, s8, s6
	s_mul_i32 s8, s8, s6
	s_mul_i32 s6, s9, s6
	s_add_i32 s2, s7, s2
	s_mul_i32 s9, s8, s11
	s_mul_hi_u32 s11, s8, s10
	s_add_i32 s2, s2, s6
	s_mul_i32 s8, s8, s10
	s_add_i32 s6, s11, s9
	s_mul_i32 s2, s2, s10
	s_mul_i32 s7, s8, s3
	s_mul_hi_u32 s9, s8, s16
	s_add_i32 s2, s6, s2
	s_add_i32 s7, s9, s7
	s_mul_i32 s2, s2, s16
	s_mul_i32 s6, s8, s16
	s_add_i32 s7, s7, s2
	s_delay_alu instid0(SALU_CYCLE_1) | instskip(NEXT) | instid1(SALU_CYCLE_1)
	s_lshl_b64 s[6:7], s[6:7], 1
	s_add_u32 s2, s4, s6
	s_addc_u32 s4, s5, s7
	s_waitcnt vmcnt(0)
	v_lshlrev_b64 v[5:6], 1, v[5:6]
	s_delay_alu instid0(VALU_DEP_1) | instskip(NEXT) | instid1(VALU_DEP_2)
	v_add_co_u32 v5, vcc_lo, s2, v5
	v_add_co_ci_u32_e32 v6, vcc_lo, s4, v6, vcc_lo
	global_load_u16 v7, v[5:6], off
	s_clause 0x1
	s_load_b256 s[4:11], s[0:1], 0x90
	s_load_b64 s[0:1], s[0:1], 0x68
	s_waitcnt lgkmcnt(0)
	v_mul_lo_u32 v8, s9, v1
	v_mul_lo_u32 v2, s8, v2
	v_mad_u64_u32 v[5:6], null, s8, v1, 0
	s_mul_i32 s2, s4, s3
	s_mul_hi_u32 s3, s4, s16
	v_mul_lo_u32 v9, s11, v3
	s_add_i32 s2, s3, s2
	s_mul_i32 s3, s5, s16
	v_mul_lo_u32 v4, s10, v4
	s_add_i32 s3, s2, s3
	s_mul_i32 s2, s4, s16
	v_mad_u64_u32 v[0:1], null, s10, v3, 0
	s_lshl_b64 s[2:3], s[2:3], 1
	v_add3_u32 v6, v6, v2, v8
	s_add_u32 s2, s0, s2
	s_mul_i32 s0, s6, s13
	s_mul_hi_u32 s4, s6, s12
	s_addc_u32 s3, s1, s3
	s_add_i32 s0, s4, s0
	s_mul_i32 s1, s7, s12
	v_add3_u32 v1, v1, v4, v9
	s_add_i32 s1, s0, s1
	s_mul_i32 s0, s6, s12
	v_lshlrev_b64 v[2:3], 1, v[5:6]
	s_lshl_b64 s[0:1], s[0:1], 1
	v_lshlrev_b64 v[0:1], 1, v[0:1]
	s_add_u32 s0, s2, s0
	s_addc_u32 s1, s3, s1
	s_delay_alu instid0(VALU_DEP_2) | instskip(SKIP_1) | instid1(VALU_DEP_2)
	v_add_co_u32 v2, vcc_lo, s0, v2
	v_add_co_ci_u32_e32 v3, vcc_lo, s1, v3, vcc_lo
	v_add_co_u32 v0, vcc_lo, v2, v0
	s_delay_alu instid0(VALU_DEP_2)
	v_add_co_ci_u32_e32 v1, vcc_lo, v3, v1, vcc_lo
	s_waitcnt vmcnt(0)
	global_store_b16 v[0:1], v7, off
.LBB31_6:
	s_nop 0
	s_sendmsg sendmsg(MSG_DEALLOC_VGPRS)
	s_endpgm
.LBB31_7:
                                        ; implicit-def: $sgpr16_sgpr17
	s_lshr_b32 s3, s18, 16
	s_branch .LBB31_2
	.section	.rodata,"a",@progbits
	.p2align	6, 0x0
	.amdhsa_kernel _ZN2at6native31max_unpooling3d_backward_kernelIsEEvPKT_lllN5torch10headeronly6detail27GenericPackedTensorAccessorINS7_14TensorAccessorIN3c108ArrayRefIlEElLm3ENS6_16DefaultPtrTraitsElEENS_6detail16IndexBoundsCheckILm4ElEElLm4ESD_lEENS8_INS9_ISC_S2_Lm3ESD_lEESH_S2_Lm4ESD_lEEi
		.amdhsa_group_segment_fixed_size 0
		.amdhsa_private_segment_fixed_size 0
		.amdhsa_kernarg_size 440
		.amdhsa_user_sgpr_count 13
		.amdhsa_user_sgpr_dispatch_ptr 0
		.amdhsa_user_sgpr_queue_ptr 0
		.amdhsa_user_sgpr_kernarg_segment_ptr 1
		.amdhsa_user_sgpr_dispatch_id 0
		.amdhsa_user_sgpr_private_segment_size 0
		.amdhsa_wavefront_size32 1
		.amdhsa_uses_dynamic_stack 0
		.amdhsa_enable_private_segment 0
		.amdhsa_system_sgpr_workgroup_id_x 1
		.amdhsa_system_sgpr_workgroup_id_y 1
		.amdhsa_system_sgpr_workgroup_id_z 1
		.amdhsa_system_sgpr_workgroup_info 0
		.amdhsa_system_vgpr_workitem_id 1
		.amdhsa_next_free_vgpr 12
		.amdhsa_next_free_sgpr 24
		.amdhsa_reserve_vcc 1
		.amdhsa_float_round_mode_32 0
		.amdhsa_float_round_mode_16_64 0
		.amdhsa_float_denorm_mode_32 3
		.amdhsa_float_denorm_mode_16_64 3
		.amdhsa_dx10_clamp 1
		.amdhsa_ieee_mode 1
		.amdhsa_fp16_overflow 0
		.amdhsa_workgroup_processor_mode 1
		.amdhsa_memory_ordered 1
		.amdhsa_forward_progress 0
		.amdhsa_shared_vgpr_count 0
		.amdhsa_exception_fp_ieee_invalid_op 0
		.amdhsa_exception_fp_denorm_src 0
		.amdhsa_exception_fp_ieee_div_zero 0
		.amdhsa_exception_fp_ieee_overflow 0
		.amdhsa_exception_fp_ieee_underflow 0
		.amdhsa_exception_fp_ieee_inexact 0
		.amdhsa_exception_int_div_zero 0
	.end_amdhsa_kernel
	.section	.text._ZN2at6native31max_unpooling3d_backward_kernelIsEEvPKT_lllN5torch10headeronly6detail27GenericPackedTensorAccessorINS7_14TensorAccessorIN3c108ArrayRefIlEElLm3ENS6_16DefaultPtrTraitsElEENS_6detail16IndexBoundsCheckILm4ElEElLm4ESD_lEENS8_INS9_ISC_S2_Lm3ESD_lEESH_S2_Lm4ESD_lEEi,"axG",@progbits,_ZN2at6native31max_unpooling3d_backward_kernelIsEEvPKT_lllN5torch10headeronly6detail27GenericPackedTensorAccessorINS7_14TensorAccessorIN3c108ArrayRefIlEElLm3ENS6_16DefaultPtrTraitsElEENS_6detail16IndexBoundsCheckILm4ElEElLm4ESD_lEENS8_INS9_ISC_S2_Lm3ESD_lEESH_S2_Lm4ESD_lEEi,comdat
.Lfunc_end31:
	.size	_ZN2at6native31max_unpooling3d_backward_kernelIsEEvPKT_lllN5torch10headeronly6detail27GenericPackedTensorAccessorINS7_14TensorAccessorIN3c108ArrayRefIlEElLm3ENS6_16DefaultPtrTraitsElEENS_6detail16IndexBoundsCheckILm4ElEElLm4ESD_lEENS8_INS9_ISC_S2_Lm3ESD_lEESH_S2_Lm4ESD_lEEi, .Lfunc_end31-_ZN2at6native31max_unpooling3d_backward_kernelIsEEvPKT_lllN5torch10headeronly6detail27GenericPackedTensorAccessorINS7_14TensorAccessorIN3c108ArrayRefIlEElLm3ENS6_16DefaultPtrTraitsElEENS_6detail16IndexBoundsCheckILm4ElEElLm4ESD_lEENS8_INS9_ISC_S2_Lm3ESD_lEESH_S2_Lm4ESD_lEEi
                                        ; -- End function
	.section	.AMDGPU.csdata,"",@progbits
; Kernel info:
; codeLenInByte = 1508
; NumSgprs: 26
; NumVgprs: 12
; ScratchSize: 0
; MemoryBound: 0
; FloatMode: 240
; IeeeMode: 1
; LDSByteSize: 0 bytes/workgroup (compile time only)
; SGPRBlocks: 3
; VGPRBlocks: 1
; NumSGPRsForWavesPerEU: 26
; NumVGPRsForWavesPerEU: 12
; Occupancy: 16
; WaveLimiterHint : 1
; COMPUTE_PGM_RSRC2:SCRATCH_EN: 0
; COMPUTE_PGM_RSRC2:USER_SGPR: 13
; COMPUTE_PGM_RSRC2:TRAP_HANDLER: 0
; COMPUTE_PGM_RSRC2:TGID_X_EN: 1
; COMPUTE_PGM_RSRC2:TGID_Y_EN: 1
; COMPUTE_PGM_RSRC2:TGID_Z_EN: 1
; COMPUTE_PGM_RSRC2:TIDIG_COMP_CNT: 1
	.section	.text._ZN2at6native31max_unpooling3d_backward_kernelIdEEvPKT_lllN5torch10headeronly6detail27GenericPackedTensorAccessorINS7_14TensorAccessorIN3c108ArrayRefIlEElLm3ENS6_16DefaultPtrTraitsElEENS_6detail16IndexBoundsCheckILm4ElEElLm4ESD_lEENS8_INS9_ISC_S2_Lm3ESD_lEESH_S2_Lm4ESD_lEEi,"axG",@progbits,_ZN2at6native31max_unpooling3d_backward_kernelIdEEvPKT_lllN5torch10headeronly6detail27GenericPackedTensorAccessorINS7_14TensorAccessorIN3c108ArrayRefIlEElLm3ENS6_16DefaultPtrTraitsElEENS_6detail16IndexBoundsCheckILm4ElEElLm4ESD_lEENS8_INS9_ISC_S2_Lm3ESD_lEESH_S2_Lm4ESD_lEEi,comdat
	.protected	_ZN2at6native31max_unpooling3d_backward_kernelIdEEvPKT_lllN5torch10headeronly6detail27GenericPackedTensorAccessorINS7_14TensorAccessorIN3c108ArrayRefIlEElLm3ENS6_16DefaultPtrTraitsElEENS_6detail16IndexBoundsCheckILm4ElEElLm4ESD_lEENS8_INS9_ISC_S2_Lm3ESD_lEESH_S2_Lm4ESD_lEEi ; -- Begin function _ZN2at6native31max_unpooling3d_backward_kernelIdEEvPKT_lllN5torch10headeronly6detail27GenericPackedTensorAccessorINS7_14TensorAccessorIN3c108ArrayRefIlEElLm3ENS6_16DefaultPtrTraitsElEENS_6detail16IndexBoundsCheckILm4ElEElLm4ESD_lEENS8_INS9_ISC_S2_Lm3ESD_lEESH_S2_Lm4ESD_lEEi
	.globl	_ZN2at6native31max_unpooling3d_backward_kernelIdEEvPKT_lllN5torch10headeronly6detail27GenericPackedTensorAccessorINS7_14TensorAccessorIN3c108ArrayRefIlEElLm3ENS6_16DefaultPtrTraitsElEENS_6detail16IndexBoundsCheckILm4ElEElLm4ESD_lEENS8_INS9_ISC_S2_Lm3ESD_lEESH_S2_Lm4ESD_lEEi
	.p2align	8
	.type	_ZN2at6native31max_unpooling3d_backward_kernelIdEEvPKT_lllN5torch10headeronly6detail27GenericPackedTensorAccessorINS7_14TensorAccessorIN3c108ArrayRefIlEElLm3ENS6_16DefaultPtrTraitsElEENS_6detail16IndexBoundsCheckILm4ElEElLm4ESD_lEENS8_INS9_ISC_S2_Lm3ESD_lEESH_S2_Lm4ESD_lEEi,@function
_ZN2at6native31max_unpooling3d_backward_kernelIdEEvPKT_lllN5torch10headeronly6detail27GenericPackedTensorAccessorINS7_14TensorAccessorIN3c108ArrayRefIlEElLm3ENS6_16DefaultPtrTraitsElEENS_6detail16IndexBoundsCheckILm4ElEElLm4ESD_lEENS8_INS9_ISC_S2_Lm3ESD_lEESH_S2_Lm4ESD_lEEi: ; @_ZN2at6native31max_unpooling3d_backward_kernelIdEEvPKT_lllN5torch10headeronly6detail27GenericPackedTensorAccessorINS7_14TensorAccessorIN3c108ArrayRefIlEElLm3ENS6_16DefaultPtrTraitsElEENS_6detail16IndexBoundsCheckILm4ElEElLm4ESD_lEENS8_INS9_ISC_S2_Lm3ESD_lEESH_S2_Lm4ESD_lEEi
; %bb.0:
	s_clause 0x2
	s_load_b64 s[2:3], s[0:1], 0x78
	s_load_b32 s8, s[0:1], 0xb0
	s_load_b32 s18, s[0:1], 0xc4
	s_add_u32 s4, s0, 0xb8
	s_mov_b32 s6, 0
	s_addc_u32 s5, s1, 0
	s_waitcnt lgkmcnt(0)
	s_mov_b32 s7, s3
	s_add_i32 s12, s15, s8
	s_cmp_lg_u64 s[6:7], 0
	s_cbranch_scc0 .LBB32_7
; %bb.1:
	s_ashr_i32 s8, s3, 31
	s_delay_alu instid0(SALU_CYCLE_1) | instskip(SKIP_2) | instid1(SALU_CYCLE_1)
	s_add_u32 s10, s2, s8
	s_mov_b32 s9, s8
	s_addc_u32 s11, s3, s8
	s_xor_b64 s[10:11], s[10:11], s[8:9]
	s_delay_alu instid0(SALU_CYCLE_1) | instskip(SKIP_3) | instid1(VALU_DEP_1)
	v_cvt_f32_u32_e32 v1, s10
	v_cvt_f32_u32_e32 v2, s11
	s_sub_u32 s15, 0, s10
	s_subb_u32 s16, 0, s11
	v_fmamk_f32 v1, v2, 0x4f800000, v1
	s_delay_alu instid0(VALU_DEP_1) | instskip(SKIP_2) | instid1(VALU_DEP_1)
	v_rcp_f32_e32 v1, v1
	s_waitcnt_depctr 0xfff
	v_mul_f32_e32 v1, 0x5f7ffffc, v1
	v_mul_f32_e32 v2, 0x2f800000, v1
	s_delay_alu instid0(VALU_DEP_1) | instskip(NEXT) | instid1(VALU_DEP_1)
	v_trunc_f32_e32 v2, v2
	v_fmamk_f32 v1, v2, 0xcf800000, v1
	v_cvt_u32_f32_e32 v2, v2
	s_delay_alu instid0(VALU_DEP_2) | instskip(NEXT) | instid1(VALU_DEP_2)
	v_cvt_u32_f32_e32 v1, v1
	v_readfirstlane_b32 s3, v2
	s_delay_alu instid0(VALU_DEP_2) | instskip(NEXT) | instid1(VALU_DEP_2)
	v_readfirstlane_b32 s7, v1
	s_mul_i32 s17, s15, s3
	s_delay_alu instid0(VALU_DEP_1)
	s_mul_hi_u32 s20, s15, s7
	s_mul_i32 s19, s16, s7
	s_add_i32 s17, s20, s17
	s_mul_i32 s21, s15, s7
	s_add_i32 s17, s17, s19
	s_mul_hi_u32 s20, s7, s21
	s_mul_hi_u32 s22, s3, s21
	s_mul_i32 s19, s3, s21
	s_mul_hi_u32 s21, s7, s17
	s_mul_i32 s7, s7, s17
	s_mul_hi_u32 s23, s3, s17
	s_add_u32 s7, s20, s7
	s_addc_u32 s20, 0, s21
	s_add_u32 s7, s7, s19
	s_mul_i32 s17, s3, s17
	s_addc_u32 s7, s20, s22
	s_addc_u32 s19, s23, 0
	s_add_u32 s7, s7, s17
	s_addc_u32 s17, 0, s19
	v_add_co_u32 v1, s7, v1, s7
	s_delay_alu instid0(VALU_DEP_1) | instskip(SKIP_1) | instid1(VALU_DEP_1)
	s_cmp_lg_u32 s7, 0
	s_addc_u32 s3, s3, s17
	v_readfirstlane_b32 s7, v1
	s_mul_i32 s17, s15, s3
	s_delay_alu instid0(VALU_DEP_1)
	s_mul_hi_u32 s19, s15, s7
	s_mul_i32 s16, s16, s7
	s_add_i32 s17, s19, s17
	s_mul_i32 s15, s15, s7
	s_add_i32 s17, s17, s16
	s_mul_hi_u32 s19, s3, s15
	s_mul_i32 s20, s3, s15
	s_mul_hi_u32 s15, s7, s15
	s_mul_hi_u32 s21, s7, s17
	s_mul_i32 s7, s7, s17
	s_mul_hi_u32 s16, s3, s17
	s_add_u32 s7, s15, s7
	s_addc_u32 s15, 0, s21
	s_add_u32 s7, s7, s20
	s_mul_i32 s17, s3, s17
	s_addc_u32 s7, s15, s19
	s_addc_u32 s15, s16, 0
	s_add_u32 s7, s7, s17
	s_addc_u32 s15, 0, s15
	v_add_co_u32 v1, s7, v1, s7
	s_delay_alu instid0(VALU_DEP_1) | instskip(SKIP_1) | instid1(VALU_DEP_1)
	s_cmp_lg_u32 s7, 0
	s_addc_u32 s3, s3, s15
	v_readfirstlane_b32 s7, v1
	s_mul_i32 s15, s12, s3
	s_mul_hi_u32 s3, s12, s3
	s_delay_alu instid0(VALU_DEP_1) | instskip(NEXT) | instid1(SALU_CYCLE_1)
	s_mul_hi_u32 s7, s12, s7
	s_add_u32 s7, s7, s15
	s_addc_u32 s3, 0, s3
	s_add_u32 s7, s7, 0
	s_addc_u32 s3, s3, 0
	s_addc_u32 s7, 0, 0
	s_add_u32 s3, s3, 0
	s_addc_u32 s7, 0, s7
	s_mul_hi_u32 s15, s10, s3
	s_mul_i32 s17, s10, s7
	s_mul_i32 s19, s10, s3
	s_add_i32 s15, s15, s17
	v_sub_co_u32 v1, s17, s12, s19
	s_mul_i32 s16, s11, s3
	s_delay_alu instid0(SALU_CYCLE_1) | instskip(NEXT) | instid1(VALU_DEP_1)
	s_add_i32 s15, s15, s16
	v_sub_co_u32 v2, s19, v1, s10
	s_sub_i32 s16, 0, s15
	s_cmp_lg_u32 s17, 0
	s_subb_u32 s16, s16, s11
	s_cmp_lg_u32 s19, 0
	v_readfirstlane_b32 s19, v2
	s_subb_u32 s16, s16, 0
	s_delay_alu instid0(SALU_CYCLE_1) | instskip(SKIP_1) | instid1(VALU_DEP_1)
	s_cmp_ge_u32 s16, s11
	s_cselect_b32 s20, -1, 0
	s_cmp_ge_u32 s19, s10
	s_cselect_b32 s19, -1, 0
	s_cmp_eq_u32 s16, s11
	s_cselect_b32 s16, s19, s20
	s_add_u32 s19, s3, 1
	s_addc_u32 s20, s7, 0
	s_add_u32 s21, s3, 2
	s_addc_u32 s22, s7, 0
	s_cmp_lg_u32 s16, 0
	s_cselect_b32 s16, s21, s19
	s_cselect_b32 s19, s22, s20
	s_cmp_lg_u32 s17, 0
	v_readfirstlane_b32 s17, v1
	s_subb_u32 s15, 0, s15
	s_delay_alu instid0(SALU_CYCLE_1) | instskip(SKIP_1) | instid1(VALU_DEP_1)
	s_cmp_ge_u32 s15, s11
	s_cselect_b32 s20, -1, 0
	s_cmp_ge_u32 s17, s10
	s_cselect_b32 s10, -1, 0
	s_cmp_eq_u32 s15, s11
	s_cselect_b32 s10, s10, s20
	s_delay_alu instid0(SALU_CYCLE_1) | instskip(SKIP_2) | instid1(SALU_CYCLE_1)
	s_cmp_lg_u32 s10, 0
	s_cselect_b32 s11, s19, s7
	s_cselect_b32 s10, s16, s3
	s_xor_b64 s[10:11], s[10:11], s[8:9]
	s_delay_alu instid0(SALU_CYCLE_1)
	s_sub_u32 s16, s10, s8
	s_subb_u32 s17, s11, s8
	s_and_not1_b32 vcc_lo, exec_lo, s6
	s_lshr_b32 s3, s18, 16
	s_cbranch_vccnz .LBB32_3
.LBB32_2:
	v_cvt_f32_u32_e32 v1, s2
	s_sub_i32 s7, 0, s2
	s_mov_b32 s17, 0
	s_delay_alu instid0(VALU_DEP_1) | instskip(SKIP_2) | instid1(VALU_DEP_1)
	v_rcp_iflag_f32_e32 v1, v1
	s_waitcnt_depctr 0xfff
	v_mul_f32_e32 v1, 0x4f7ffffe, v1
	v_cvt_u32_f32_e32 v1, v1
	s_delay_alu instid0(VALU_DEP_1) | instskip(NEXT) | instid1(VALU_DEP_1)
	v_readfirstlane_b32 s6, v1
	s_mul_i32 s7, s7, s6
	s_delay_alu instid0(SALU_CYCLE_1) | instskip(NEXT) | instid1(SALU_CYCLE_1)
	s_mul_hi_u32 s7, s6, s7
	s_add_i32 s6, s6, s7
	s_delay_alu instid0(SALU_CYCLE_1) | instskip(NEXT) | instid1(SALU_CYCLE_1)
	s_mul_hi_u32 s6, s12, s6
	s_mul_i32 s7, s6, s2
	s_add_i32 s8, s6, 1
	s_sub_i32 s7, s12, s7
	s_delay_alu instid0(SALU_CYCLE_1)
	s_sub_i32 s9, s7, s2
	s_cmp_ge_u32 s7, s2
	s_cselect_b32 s6, s8, s6
	s_cselect_b32 s7, s9, s7
	s_add_i32 s8, s6, 1
	s_cmp_ge_u32 s7, s2
	s_cselect_b32 s16, s8, s6
.LBB32_3:
	s_load_b64 s[6:7], s[0:1], 0x80
	v_bfe_u32 v3, v0, 10, 10
	s_and_b32 s3, 0xffff, s3
	s_delay_alu instid0(VALU_DEP_1) | instid1(SALU_CYCLE_1)
	v_mad_u64_u32 v[1:2], null, s14, s3, v[3:4]
	s_mov_b32 s3, exec_lo
	s_delay_alu instid0(VALU_DEP_1) | instskip(SKIP_1) | instid1(VALU_DEP_1)
	v_ashrrev_i32_e32 v2, 31, v1
	s_waitcnt lgkmcnt(0)
	v_cmpx_gt_i64_e64 s[6:7], v[1:2]
	s_cbranch_execz .LBB32_6
; %bb.4:
	s_load_b32 s3, s[4:5], 0xc
	s_load_b64 s[4:5], s[0:1], 0x88
	v_and_b32_e32 v0, 0x3ff, v0
	s_waitcnt lgkmcnt(0)
	s_and_b32 s3, s3, 0xffff
	s_delay_alu instid0(VALU_DEP_1) | instid1(SALU_CYCLE_1)
	v_mad_u64_u32 v[3:4], null, s13, s3, v[0:1]
	s_delay_alu instid0(VALU_DEP_1) | instskip(NEXT) | instid1(VALU_DEP_1)
	v_ashrrev_i32_e32 v4, 31, v3
	v_cmp_gt_i64_e32 vcc_lo, s[4:5], v[3:4]
	s_and_b32 exec_lo, exec_lo, vcc_lo
	s_cbranch_execz .LBB32_6
; %bb.5:
	s_clause 0x1
	s_load_b256 s[4:11], s[0:1], 0x48
	s_load_b64 s[14:15], s[0:1], 0x20
	s_mul_i32 s13, s16, s2
	s_bfe_i64 s[2:3], s[16:17], 0x200000
	s_sub_i32 s12, s12, s13
	s_waitcnt lgkmcnt(0)
	s_mul_i32 s2, s4, s3
	s_mul_hi_u32 s13, s4, s16
	s_mul_i32 s5, s5, s16
	v_mul_lo_u32 v0, s9, v1
	v_mul_lo_u32 v9, s8, v2
	v_mad_u64_u32 v[5:6], null, s8, v1, 0
	s_add_i32 s2, s13, s2
	s_mul_i32 s4, s4, s16
	s_add_i32 s5, s2, s5
	v_mul_lo_u32 v10, s11, v3
	s_lshl_b64 s[4:5], s[4:5], 3
	v_mul_lo_u32 v11, s10, v4
	v_mad_u64_u32 v[7:8], null, s10, v3, 0
	s_mul_i32 s2, s7, s12
	s_add_u32 s7, s14, s4
	s_addc_u32 s8, s15, s5
	s_ashr_i32 s13, s12, 31
	v_add3_u32 v6, v6, v9, v0
	s_mul_hi_u32 s17, s6, s12
	s_mul_i32 s4, s6, s13
	v_add3_u32 v8, v8, v11, v10
	s_add_i32 s5, s17, s4
	s_mul_i32 s4, s6, s12
	s_add_i32 s5, s5, s2
	v_lshlrev_b64 v[5:6], 3, v[5:6]
	s_lshl_b64 s[4:5], s[4:5], 3
	v_lshlrev_b64 v[7:8], 3, v[7:8]
	s_add_u32 s2, s7, s4
	s_addc_u32 s4, s8, s5
	s_delay_alu instid0(VALU_DEP_2) | instskip(SKIP_2) | instid1(VALU_DEP_2)
	v_add_co_u32 v0, vcc_lo, s2, v5
	v_add_co_ci_u32_e32 v6, vcc_lo, s4, v6, vcc_lo
	s_load_b256 s[4:11], s[0:1], 0x0
	v_add_co_u32 v5, vcc_lo, v0, v7
	s_delay_alu instid0(VALU_DEP_2)
	v_add_co_ci_u32_e32 v6, vcc_lo, v6, v8, vcc_lo
	global_load_b64 v[5:6], v[5:6], off
	s_waitcnt lgkmcnt(0)
	s_mul_i32 s2, s8, s7
	s_mul_hi_u32 s7, s8, s6
	s_mul_i32 s8, s8, s6
	s_mul_i32 s6, s9, s6
	s_add_i32 s2, s7, s2
	s_mul_i32 s9, s8, s11
	s_mul_hi_u32 s11, s8, s10
	s_add_i32 s2, s2, s6
	s_mul_i32 s8, s8, s10
	s_add_i32 s6, s11, s9
	s_mul_i32 s2, s2, s10
	s_mul_i32 s7, s8, s3
	s_mul_hi_u32 s9, s8, s16
	s_add_i32 s2, s6, s2
	s_add_i32 s7, s9, s7
	s_mul_i32 s2, s2, s16
	s_mul_i32 s6, s8, s16
	s_add_i32 s7, s7, s2
	s_delay_alu instid0(SALU_CYCLE_1) | instskip(NEXT) | instid1(SALU_CYCLE_1)
	s_lshl_b64 s[6:7], s[6:7], 3
	s_add_u32 s2, s4, s6
	s_addc_u32 s4, s5, s7
	s_waitcnt vmcnt(0)
	v_lshlrev_b64 v[5:6], 3, v[5:6]
	s_delay_alu instid0(VALU_DEP_1) | instskip(NEXT) | instid1(VALU_DEP_2)
	v_add_co_u32 v5, vcc_lo, s2, v5
	v_add_co_ci_u32_e32 v6, vcc_lo, s4, v6, vcc_lo
	global_load_b64 v[5:6], v[5:6], off
	s_clause 0x1
	s_load_b256 s[4:11], s[0:1], 0x90
	s_load_b64 s[0:1], s[0:1], 0x68
	s_waitcnt lgkmcnt(0)
	v_mul_lo_u32 v9, s9, v1
	v_mul_lo_u32 v2, s8, v2
	v_mad_u64_u32 v[7:8], null, s8, v1, 0
	s_mul_i32 s2, s4, s3
	s_mul_hi_u32 s3, s4, s16
	v_mul_lo_u32 v10, s11, v3
	s_add_i32 s2, s3, s2
	s_mul_i32 s3, s5, s16
	v_mul_lo_u32 v4, s10, v4
	s_add_i32 s3, s2, s3
	s_mul_i32 s2, s4, s16
	v_mad_u64_u32 v[0:1], null, s10, v3, 0
	s_lshl_b64 s[2:3], s[2:3], 3
	v_add3_u32 v8, v8, v2, v9
	s_add_u32 s2, s0, s2
	s_mul_i32 s0, s6, s13
	s_mul_hi_u32 s4, s6, s12
	s_addc_u32 s3, s1, s3
	s_add_i32 s0, s4, s0
	s_mul_i32 s1, s7, s12
	v_add3_u32 v1, v1, v4, v10
	s_add_i32 s1, s0, s1
	s_mul_i32 s0, s6, s12
	v_lshlrev_b64 v[2:3], 3, v[7:8]
	s_lshl_b64 s[0:1], s[0:1], 3
	v_lshlrev_b64 v[0:1], 3, v[0:1]
	s_add_u32 s0, s2, s0
	s_addc_u32 s1, s3, s1
	s_delay_alu instid0(VALU_DEP_2) | instskip(SKIP_1) | instid1(VALU_DEP_2)
	v_add_co_u32 v2, vcc_lo, s0, v2
	v_add_co_ci_u32_e32 v3, vcc_lo, s1, v3, vcc_lo
	v_add_co_u32 v0, vcc_lo, v2, v0
	s_delay_alu instid0(VALU_DEP_2)
	v_add_co_ci_u32_e32 v1, vcc_lo, v3, v1, vcc_lo
	s_waitcnt vmcnt(0)
	global_store_b64 v[0:1], v[5:6], off
.LBB32_6:
	s_nop 0
	s_sendmsg sendmsg(MSG_DEALLOC_VGPRS)
	s_endpgm
.LBB32_7:
                                        ; implicit-def: $sgpr16_sgpr17
	s_lshr_b32 s3, s18, 16
	s_branch .LBB32_2
	.section	.rodata,"a",@progbits
	.p2align	6, 0x0
	.amdhsa_kernel _ZN2at6native31max_unpooling3d_backward_kernelIdEEvPKT_lllN5torch10headeronly6detail27GenericPackedTensorAccessorINS7_14TensorAccessorIN3c108ArrayRefIlEElLm3ENS6_16DefaultPtrTraitsElEENS_6detail16IndexBoundsCheckILm4ElEElLm4ESD_lEENS8_INS9_ISC_S2_Lm3ESD_lEESH_S2_Lm4ESD_lEEi
		.amdhsa_group_segment_fixed_size 0
		.amdhsa_private_segment_fixed_size 0
		.amdhsa_kernarg_size 440
		.amdhsa_user_sgpr_count 13
		.amdhsa_user_sgpr_dispatch_ptr 0
		.amdhsa_user_sgpr_queue_ptr 0
		.amdhsa_user_sgpr_kernarg_segment_ptr 1
		.amdhsa_user_sgpr_dispatch_id 0
		.amdhsa_user_sgpr_private_segment_size 0
		.amdhsa_wavefront_size32 1
		.amdhsa_uses_dynamic_stack 0
		.amdhsa_enable_private_segment 0
		.amdhsa_system_sgpr_workgroup_id_x 1
		.amdhsa_system_sgpr_workgroup_id_y 1
		.amdhsa_system_sgpr_workgroup_id_z 1
		.amdhsa_system_sgpr_workgroup_info 0
		.amdhsa_system_vgpr_workitem_id 1
		.amdhsa_next_free_vgpr 12
		.amdhsa_next_free_sgpr 24
		.amdhsa_reserve_vcc 1
		.amdhsa_float_round_mode_32 0
		.amdhsa_float_round_mode_16_64 0
		.amdhsa_float_denorm_mode_32 3
		.amdhsa_float_denorm_mode_16_64 3
		.amdhsa_dx10_clamp 1
		.amdhsa_ieee_mode 1
		.amdhsa_fp16_overflow 0
		.amdhsa_workgroup_processor_mode 1
		.amdhsa_memory_ordered 1
		.amdhsa_forward_progress 0
		.amdhsa_shared_vgpr_count 0
		.amdhsa_exception_fp_ieee_invalid_op 0
		.amdhsa_exception_fp_denorm_src 0
		.amdhsa_exception_fp_ieee_div_zero 0
		.amdhsa_exception_fp_ieee_overflow 0
		.amdhsa_exception_fp_ieee_underflow 0
		.amdhsa_exception_fp_ieee_inexact 0
		.amdhsa_exception_int_div_zero 0
	.end_amdhsa_kernel
	.section	.text._ZN2at6native31max_unpooling3d_backward_kernelIdEEvPKT_lllN5torch10headeronly6detail27GenericPackedTensorAccessorINS7_14TensorAccessorIN3c108ArrayRefIlEElLm3ENS6_16DefaultPtrTraitsElEENS_6detail16IndexBoundsCheckILm4ElEElLm4ESD_lEENS8_INS9_ISC_S2_Lm3ESD_lEESH_S2_Lm4ESD_lEEi,"axG",@progbits,_ZN2at6native31max_unpooling3d_backward_kernelIdEEvPKT_lllN5torch10headeronly6detail27GenericPackedTensorAccessorINS7_14TensorAccessorIN3c108ArrayRefIlEElLm3ENS6_16DefaultPtrTraitsElEENS_6detail16IndexBoundsCheckILm4ElEElLm4ESD_lEENS8_INS9_ISC_S2_Lm3ESD_lEESH_S2_Lm4ESD_lEEi,comdat
.Lfunc_end32:
	.size	_ZN2at6native31max_unpooling3d_backward_kernelIdEEvPKT_lllN5torch10headeronly6detail27GenericPackedTensorAccessorINS7_14TensorAccessorIN3c108ArrayRefIlEElLm3ENS6_16DefaultPtrTraitsElEENS_6detail16IndexBoundsCheckILm4ElEElLm4ESD_lEENS8_INS9_ISC_S2_Lm3ESD_lEESH_S2_Lm4ESD_lEEi, .Lfunc_end32-_ZN2at6native31max_unpooling3d_backward_kernelIdEEvPKT_lllN5torch10headeronly6detail27GenericPackedTensorAccessorINS7_14TensorAccessorIN3c108ArrayRefIlEElLm3ENS6_16DefaultPtrTraitsElEENS_6detail16IndexBoundsCheckILm4ElEElLm4ESD_lEENS8_INS9_ISC_S2_Lm3ESD_lEESH_S2_Lm4ESD_lEEi
                                        ; -- End function
	.section	.AMDGPU.csdata,"",@progbits
; Kernel info:
; codeLenInByte = 1508
; NumSgprs: 26
; NumVgprs: 12
; ScratchSize: 0
; MemoryBound: 0
; FloatMode: 240
; IeeeMode: 1
; LDSByteSize: 0 bytes/workgroup (compile time only)
; SGPRBlocks: 3
; VGPRBlocks: 1
; NumSGPRsForWavesPerEU: 26
; NumVGPRsForWavesPerEU: 12
; Occupancy: 16
; WaveLimiterHint : 1
; COMPUTE_PGM_RSRC2:SCRATCH_EN: 0
; COMPUTE_PGM_RSRC2:USER_SGPR: 13
; COMPUTE_PGM_RSRC2:TRAP_HANDLER: 0
; COMPUTE_PGM_RSRC2:TGID_X_EN: 1
; COMPUTE_PGM_RSRC2:TGID_Y_EN: 1
; COMPUTE_PGM_RSRC2:TGID_Z_EN: 1
; COMPUTE_PGM_RSRC2:TIDIG_COMP_CNT: 1
	.section	.text._ZN2at6native31max_unpooling3d_backward_kernelIfEEvPKT_lllN5torch10headeronly6detail27GenericPackedTensorAccessorINS7_14TensorAccessorIN3c108ArrayRefIlEElLm3ENS6_16DefaultPtrTraitsElEENS_6detail16IndexBoundsCheckILm4ElEElLm4ESD_lEENS8_INS9_ISC_S2_Lm3ESD_lEESH_S2_Lm4ESD_lEEi,"axG",@progbits,_ZN2at6native31max_unpooling3d_backward_kernelIfEEvPKT_lllN5torch10headeronly6detail27GenericPackedTensorAccessorINS7_14TensorAccessorIN3c108ArrayRefIlEElLm3ENS6_16DefaultPtrTraitsElEENS_6detail16IndexBoundsCheckILm4ElEElLm4ESD_lEENS8_INS9_ISC_S2_Lm3ESD_lEESH_S2_Lm4ESD_lEEi,comdat
	.protected	_ZN2at6native31max_unpooling3d_backward_kernelIfEEvPKT_lllN5torch10headeronly6detail27GenericPackedTensorAccessorINS7_14TensorAccessorIN3c108ArrayRefIlEElLm3ENS6_16DefaultPtrTraitsElEENS_6detail16IndexBoundsCheckILm4ElEElLm4ESD_lEENS8_INS9_ISC_S2_Lm3ESD_lEESH_S2_Lm4ESD_lEEi ; -- Begin function _ZN2at6native31max_unpooling3d_backward_kernelIfEEvPKT_lllN5torch10headeronly6detail27GenericPackedTensorAccessorINS7_14TensorAccessorIN3c108ArrayRefIlEElLm3ENS6_16DefaultPtrTraitsElEENS_6detail16IndexBoundsCheckILm4ElEElLm4ESD_lEENS8_INS9_ISC_S2_Lm3ESD_lEESH_S2_Lm4ESD_lEEi
	.globl	_ZN2at6native31max_unpooling3d_backward_kernelIfEEvPKT_lllN5torch10headeronly6detail27GenericPackedTensorAccessorINS7_14TensorAccessorIN3c108ArrayRefIlEElLm3ENS6_16DefaultPtrTraitsElEENS_6detail16IndexBoundsCheckILm4ElEElLm4ESD_lEENS8_INS9_ISC_S2_Lm3ESD_lEESH_S2_Lm4ESD_lEEi
	.p2align	8
	.type	_ZN2at6native31max_unpooling3d_backward_kernelIfEEvPKT_lllN5torch10headeronly6detail27GenericPackedTensorAccessorINS7_14TensorAccessorIN3c108ArrayRefIlEElLm3ENS6_16DefaultPtrTraitsElEENS_6detail16IndexBoundsCheckILm4ElEElLm4ESD_lEENS8_INS9_ISC_S2_Lm3ESD_lEESH_S2_Lm4ESD_lEEi,@function
_ZN2at6native31max_unpooling3d_backward_kernelIfEEvPKT_lllN5torch10headeronly6detail27GenericPackedTensorAccessorINS7_14TensorAccessorIN3c108ArrayRefIlEElLm3ENS6_16DefaultPtrTraitsElEENS_6detail16IndexBoundsCheckILm4ElEElLm4ESD_lEENS8_INS9_ISC_S2_Lm3ESD_lEESH_S2_Lm4ESD_lEEi: ; @_ZN2at6native31max_unpooling3d_backward_kernelIfEEvPKT_lllN5torch10headeronly6detail27GenericPackedTensorAccessorINS7_14TensorAccessorIN3c108ArrayRefIlEElLm3ENS6_16DefaultPtrTraitsElEENS_6detail16IndexBoundsCheckILm4ElEElLm4ESD_lEENS8_INS9_ISC_S2_Lm3ESD_lEESH_S2_Lm4ESD_lEEi
; %bb.0:
	s_clause 0x2
	s_load_b64 s[2:3], s[0:1], 0x78
	s_load_b32 s8, s[0:1], 0xb0
	s_load_b32 s18, s[0:1], 0xc4
	s_add_u32 s4, s0, 0xb8
	s_mov_b32 s6, 0
	s_addc_u32 s5, s1, 0
	s_waitcnt lgkmcnt(0)
	s_mov_b32 s7, s3
	s_add_i32 s12, s15, s8
	s_cmp_lg_u64 s[6:7], 0
	s_cbranch_scc0 .LBB33_7
; %bb.1:
	s_ashr_i32 s8, s3, 31
	s_delay_alu instid0(SALU_CYCLE_1) | instskip(SKIP_2) | instid1(SALU_CYCLE_1)
	s_add_u32 s10, s2, s8
	s_mov_b32 s9, s8
	s_addc_u32 s11, s3, s8
	s_xor_b64 s[10:11], s[10:11], s[8:9]
	s_delay_alu instid0(SALU_CYCLE_1) | instskip(SKIP_3) | instid1(VALU_DEP_1)
	v_cvt_f32_u32_e32 v1, s10
	v_cvt_f32_u32_e32 v2, s11
	s_sub_u32 s15, 0, s10
	s_subb_u32 s16, 0, s11
	v_fmamk_f32 v1, v2, 0x4f800000, v1
	s_delay_alu instid0(VALU_DEP_1) | instskip(SKIP_2) | instid1(VALU_DEP_1)
	v_rcp_f32_e32 v1, v1
	s_waitcnt_depctr 0xfff
	v_mul_f32_e32 v1, 0x5f7ffffc, v1
	v_mul_f32_e32 v2, 0x2f800000, v1
	s_delay_alu instid0(VALU_DEP_1) | instskip(NEXT) | instid1(VALU_DEP_1)
	v_trunc_f32_e32 v2, v2
	v_fmamk_f32 v1, v2, 0xcf800000, v1
	v_cvt_u32_f32_e32 v2, v2
	s_delay_alu instid0(VALU_DEP_2) | instskip(NEXT) | instid1(VALU_DEP_2)
	v_cvt_u32_f32_e32 v1, v1
	v_readfirstlane_b32 s3, v2
	s_delay_alu instid0(VALU_DEP_2) | instskip(NEXT) | instid1(VALU_DEP_2)
	v_readfirstlane_b32 s7, v1
	s_mul_i32 s17, s15, s3
	s_delay_alu instid0(VALU_DEP_1)
	s_mul_hi_u32 s20, s15, s7
	s_mul_i32 s19, s16, s7
	s_add_i32 s17, s20, s17
	s_mul_i32 s21, s15, s7
	s_add_i32 s17, s17, s19
	s_mul_hi_u32 s20, s7, s21
	s_mul_hi_u32 s22, s3, s21
	s_mul_i32 s19, s3, s21
	s_mul_hi_u32 s21, s7, s17
	s_mul_i32 s7, s7, s17
	s_mul_hi_u32 s23, s3, s17
	s_add_u32 s7, s20, s7
	s_addc_u32 s20, 0, s21
	s_add_u32 s7, s7, s19
	s_mul_i32 s17, s3, s17
	s_addc_u32 s7, s20, s22
	s_addc_u32 s19, s23, 0
	s_add_u32 s7, s7, s17
	s_addc_u32 s17, 0, s19
	v_add_co_u32 v1, s7, v1, s7
	s_delay_alu instid0(VALU_DEP_1) | instskip(SKIP_1) | instid1(VALU_DEP_1)
	s_cmp_lg_u32 s7, 0
	s_addc_u32 s3, s3, s17
	v_readfirstlane_b32 s7, v1
	s_mul_i32 s17, s15, s3
	s_delay_alu instid0(VALU_DEP_1)
	s_mul_hi_u32 s19, s15, s7
	s_mul_i32 s16, s16, s7
	s_add_i32 s17, s19, s17
	s_mul_i32 s15, s15, s7
	s_add_i32 s17, s17, s16
	s_mul_hi_u32 s19, s3, s15
	s_mul_i32 s20, s3, s15
	s_mul_hi_u32 s15, s7, s15
	s_mul_hi_u32 s21, s7, s17
	s_mul_i32 s7, s7, s17
	s_mul_hi_u32 s16, s3, s17
	s_add_u32 s7, s15, s7
	s_addc_u32 s15, 0, s21
	s_add_u32 s7, s7, s20
	s_mul_i32 s17, s3, s17
	s_addc_u32 s7, s15, s19
	s_addc_u32 s15, s16, 0
	s_add_u32 s7, s7, s17
	s_addc_u32 s15, 0, s15
	v_add_co_u32 v1, s7, v1, s7
	s_delay_alu instid0(VALU_DEP_1) | instskip(SKIP_1) | instid1(VALU_DEP_1)
	s_cmp_lg_u32 s7, 0
	s_addc_u32 s3, s3, s15
	v_readfirstlane_b32 s7, v1
	s_mul_i32 s15, s12, s3
	s_mul_hi_u32 s3, s12, s3
	s_delay_alu instid0(VALU_DEP_1) | instskip(NEXT) | instid1(SALU_CYCLE_1)
	s_mul_hi_u32 s7, s12, s7
	s_add_u32 s7, s7, s15
	s_addc_u32 s3, 0, s3
	s_add_u32 s7, s7, 0
	s_addc_u32 s3, s3, 0
	s_addc_u32 s7, 0, 0
	s_add_u32 s3, s3, 0
	s_addc_u32 s7, 0, s7
	s_mul_hi_u32 s15, s10, s3
	s_mul_i32 s17, s10, s7
	s_mul_i32 s19, s10, s3
	s_add_i32 s15, s15, s17
	v_sub_co_u32 v1, s17, s12, s19
	s_mul_i32 s16, s11, s3
	s_delay_alu instid0(SALU_CYCLE_1) | instskip(NEXT) | instid1(VALU_DEP_1)
	s_add_i32 s15, s15, s16
	v_sub_co_u32 v2, s19, v1, s10
	s_sub_i32 s16, 0, s15
	s_cmp_lg_u32 s17, 0
	s_subb_u32 s16, s16, s11
	s_cmp_lg_u32 s19, 0
	v_readfirstlane_b32 s19, v2
	s_subb_u32 s16, s16, 0
	s_delay_alu instid0(SALU_CYCLE_1) | instskip(SKIP_1) | instid1(VALU_DEP_1)
	s_cmp_ge_u32 s16, s11
	s_cselect_b32 s20, -1, 0
	s_cmp_ge_u32 s19, s10
	s_cselect_b32 s19, -1, 0
	s_cmp_eq_u32 s16, s11
	s_cselect_b32 s16, s19, s20
	s_add_u32 s19, s3, 1
	s_addc_u32 s20, s7, 0
	s_add_u32 s21, s3, 2
	s_addc_u32 s22, s7, 0
	s_cmp_lg_u32 s16, 0
	s_cselect_b32 s16, s21, s19
	s_cselect_b32 s19, s22, s20
	s_cmp_lg_u32 s17, 0
	v_readfirstlane_b32 s17, v1
	s_subb_u32 s15, 0, s15
	s_delay_alu instid0(SALU_CYCLE_1) | instskip(SKIP_1) | instid1(VALU_DEP_1)
	s_cmp_ge_u32 s15, s11
	s_cselect_b32 s20, -1, 0
	s_cmp_ge_u32 s17, s10
	s_cselect_b32 s10, -1, 0
	s_cmp_eq_u32 s15, s11
	s_cselect_b32 s10, s10, s20
	s_delay_alu instid0(SALU_CYCLE_1) | instskip(SKIP_2) | instid1(SALU_CYCLE_1)
	s_cmp_lg_u32 s10, 0
	s_cselect_b32 s11, s19, s7
	s_cselect_b32 s10, s16, s3
	s_xor_b64 s[10:11], s[10:11], s[8:9]
	s_delay_alu instid0(SALU_CYCLE_1)
	s_sub_u32 s16, s10, s8
	s_subb_u32 s17, s11, s8
	s_and_not1_b32 vcc_lo, exec_lo, s6
	s_lshr_b32 s3, s18, 16
	s_cbranch_vccnz .LBB33_3
.LBB33_2:
	v_cvt_f32_u32_e32 v1, s2
	s_sub_i32 s7, 0, s2
	s_mov_b32 s17, 0
	s_delay_alu instid0(VALU_DEP_1) | instskip(SKIP_2) | instid1(VALU_DEP_1)
	v_rcp_iflag_f32_e32 v1, v1
	s_waitcnt_depctr 0xfff
	v_mul_f32_e32 v1, 0x4f7ffffe, v1
	v_cvt_u32_f32_e32 v1, v1
	s_delay_alu instid0(VALU_DEP_1) | instskip(NEXT) | instid1(VALU_DEP_1)
	v_readfirstlane_b32 s6, v1
	s_mul_i32 s7, s7, s6
	s_delay_alu instid0(SALU_CYCLE_1) | instskip(NEXT) | instid1(SALU_CYCLE_1)
	s_mul_hi_u32 s7, s6, s7
	s_add_i32 s6, s6, s7
	s_delay_alu instid0(SALU_CYCLE_1) | instskip(NEXT) | instid1(SALU_CYCLE_1)
	s_mul_hi_u32 s6, s12, s6
	s_mul_i32 s7, s6, s2
	s_add_i32 s8, s6, 1
	s_sub_i32 s7, s12, s7
	s_delay_alu instid0(SALU_CYCLE_1)
	s_sub_i32 s9, s7, s2
	s_cmp_ge_u32 s7, s2
	s_cselect_b32 s6, s8, s6
	s_cselect_b32 s7, s9, s7
	s_add_i32 s8, s6, 1
	s_cmp_ge_u32 s7, s2
	s_cselect_b32 s16, s8, s6
.LBB33_3:
	s_load_b64 s[6:7], s[0:1], 0x80
	v_bfe_u32 v3, v0, 10, 10
	s_and_b32 s3, 0xffff, s3
	s_delay_alu instid0(VALU_DEP_1) | instid1(SALU_CYCLE_1)
	v_mad_u64_u32 v[1:2], null, s14, s3, v[3:4]
	s_mov_b32 s3, exec_lo
	s_delay_alu instid0(VALU_DEP_1) | instskip(SKIP_1) | instid1(VALU_DEP_1)
	v_ashrrev_i32_e32 v2, 31, v1
	s_waitcnt lgkmcnt(0)
	v_cmpx_gt_i64_e64 s[6:7], v[1:2]
	s_cbranch_execz .LBB33_6
; %bb.4:
	s_load_b32 s3, s[4:5], 0xc
	s_load_b64 s[4:5], s[0:1], 0x88
	v_and_b32_e32 v0, 0x3ff, v0
	s_waitcnt lgkmcnt(0)
	s_and_b32 s3, s3, 0xffff
	s_delay_alu instid0(VALU_DEP_1) | instid1(SALU_CYCLE_1)
	v_mad_u64_u32 v[3:4], null, s13, s3, v[0:1]
	s_delay_alu instid0(VALU_DEP_1) | instskip(NEXT) | instid1(VALU_DEP_1)
	v_ashrrev_i32_e32 v4, 31, v3
	v_cmp_gt_i64_e32 vcc_lo, s[4:5], v[3:4]
	s_and_b32 exec_lo, exec_lo, vcc_lo
	s_cbranch_execz .LBB33_6
; %bb.5:
	s_clause 0x1
	s_load_b256 s[4:11], s[0:1], 0x48
	s_load_b64 s[14:15], s[0:1], 0x20
	s_mul_i32 s13, s16, s2
	s_bfe_i64 s[2:3], s[16:17], 0x200000
	s_sub_i32 s12, s12, s13
	s_waitcnt lgkmcnt(0)
	s_mul_i32 s2, s4, s3
	s_mul_hi_u32 s13, s4, s16
	s_mul_i32 s5, s5, s16
	v_mul_lo_u32 v0, s9, v1
	v_mul_lo_u32 v9, s8, v2
	v_mad_u64_u32 v[5:6], null, s8, v1, 0
	s_add_i32 s2, s13, s2
	s_mul_i32 s4, s4, s16
	s_add_i32 s5, s2, s5
	v_mul_lo_u32 v10, s11, v3
	s_lshl_b64 s[4:5], s[4:5], 3
	v_mul_lo_u32 v11, s10, v4
	v_mad_u64_u32 v[7:8], null, s10, v3, 0
	s_mul_i32 s2, s7, s12
	s_add_u32 s7, s14, s4
	s_addc_u32 s8, s15, s5
	s_ashr_i32 s13, s12, 31
	v_add3_u32 v6, v6, v9, v0
	s_mul_hi_u32 s17, s6, s12
	s_mul_i32 s4, s6, s13
	v_add3_u32 v8, v8, v11, v10
	s_add_i32 s5, s17, s4
	s_mul_i32 s4, s6, s12
	s_add_i32 s5, s5, s2
	v_lshlrev_b64 v[5:6], 3, v[5:6]
	s_lshl_b64 s[4:5], s[4:5], 3
	v_lshlrev_b64 v[7:8], 3, v[7:8]
	s_add_u32 s2, s7, s4
	s_addc_u32 s4, s8, s5
	s_delay_alu instid0(VALU_DEP_2) | instskip(SKIP_2) | instid1(VALU_DEP_2)
	v_add_co_u32 v0, vcc_lo, s2, v5
	v_add_co_ci_u32_e32 v6, vcc_lo, s4, v6, vcc_lo
	s_load_b256 s[4:11], s[0:1], 0x0
	v_add_co_u32 v5, vcc_lo, v0, v7
	s_delay_alu instid0(VALU_DEP_2)
	v_add_co_ci_u32_e32 v6, vcc_lo, v6, v8, vcc_lo
	global_load_b64 v[5:6], v[5:6], off
	s_waitcnt lgkmcnt(0)
	s_mul_i32 s2, s8, s7
	s_mul_hi_u32 s7, s8, s6
	s_mul_i32 s8, s8, s6
	s_mul_i32 s6, s9, s6
	s_add_i32 s2, s7, s2
	s_mul_i32 s9, s8, s11
	s_mul_hi_u32 s11, s8, s10
	s_add_i32 s2, s2, s6
	s_mul_i32 s8, s8, s10
	s_add_i32 s6, s11, s9
	s_mul_i32 s2, s2, s10
	s_mul_i32 s7, s8, s3
	s_mul_hi_u32 s9, s8, s16
	s_add_i32 s2, s6, s2
	s_add_i32 s7, s9, s7
	s_mul_i32 s2, s2, s16
	s_mul_i32 s6, s8, s16
	s_add_i32 s7, s7, s2
	s_delay_alu instid0(SALU_CYCLE_1) | instskip(NEXT) | instid1(SALU_CYCLE_1)
	s_lshl_b64 s[6:7], s[6:7], 2
	s_add_u32 s2, s4, s6
	s_addc_u32 s4, s5, s7
	s_waitcnt vmcnt(0)
	v_lshlrev_b64 v[5:6], 2, v[5:6]
	s_delay_alu instid0(VALU_DEP_1) | instskip(NEXT) | instid1(VALU_DEP_2)
	v_add_co_u32 v5, vcc_lo, s2, v5
	v_add_co_ci_u32_e32 v6, vcc_lo, s4, v6, vcc_lo
	global_load_b32 v7, v[5:6], off
	s_clause 0x1
	s_load_b256 s[4:11], s[0:1], 0x90
	s_load_b64 s[0:1], s[0:1], 0x68
	s_waitcnt lgkmcnt(0)
	v_mul_lo_u32 v8, s9, v1
	v_mul_lo_u32 v2, s8, v2
	v_mad_u64_u32 v[5:6], null, s8, v1, 0
	s_mul_i32 s2, s4, s3
	s_mul_hi_u32 s3, s4, s16
	v_mul_lo_u32 v9, s11, v3
	s_add_i32 s2, s3, s2
	s_mul_i32 s3, s5, s16
	v_mul_lo_u32 v4, s10, v4
	s_add_i32 s3, s2, s3
	s_mul_i32 s2, s4, s16
	v_mad_u64_u32 v[0:1], null, s10, v3, 0
	s_lshl_b64 s[2:3], s[2:3], 2
	v_add3_u32 v6, v6, v2, v8
	s_add_u32 s2, s0, s2
	s_mul_i32 s0, s6, s13
	s_mul_hi_u32 s4, s6, s12
	s_addc_u32 s3, s1, s3
	s_add_i32 s0, s4, s0
	s_mul_i32 s1, s7, s12
	v_add3_u32 v1, v1, v4, v9
	s_add_i32 s1, s0, s1
	s_mul_i32 s0, s6, s12
	v_lshlrev_b64 v[2:3], 2, v[5:6]
	s_lshl_b64 s[0:1], s[0:1], 2
	v_lshlrev_b64 v[0:1], 2, v[0:1]
	s_add_u32 s0, s2, s0
	s_addc_u32 s1, s3, s1
	s_delay_alu instid0(VALU_DEP_2) | instskip(SKIP_1) | instid1(VALU_DEP_2)
	v_add_co_u32 v2, vcc_lo, s0, v2
	v_add_co_ci_u32_e32 v3, vcc_lo, s1, v3, vcc_lo
	v_add_co_u32 v0, vcc_lo, v2, v0
	s_delay_alu instid0(VALU_DEP_2)
	v_add_co_ci_u32_e32 v1, vcc_lo, v3, v1, vcc_lo
	s_waitcnt vmcnt(0)
	global_store_b32 v[0:1], v7, off
.LBB33_6:
	s_nop 0
	s_sendmsg sendmsg(MSG_DEALLOC_VGPRS)
	s_endpgm
.LBB33_7:
                                        ; implicit-def: $sgpr16_sgpr17
	s_lshr_b32 s3, s18, 16
	s_branch .LBB33_2
	.section	.rodata,"a",@progbits
	.p2align	6, 0x0
	.amdhsa_kernel _ZN2at6native31max_unpooling3d_backward_kernelIfEEvPKT_lllN5torch10headeronly6detail27GenericPackedTensorAccessorINS7_14TensorAccessorIN3c108ArrayRefIlEElLm3ENS6_16DefaultPtrTraitsElEENS_6detail16IndexBoundsCheckILm4ElEElLm4ESD_lEENS8_INS9_ISC_S2_Lm3ESD_lEESH_S2_Lm4ESD_lEEi
		.amdhsa_group_segment_fixed_size 0
		.amdhsa_private_segment_fixed_size 0
		.amdhsa_kernarg_size 440
		.amdhsa_user_sgpr_count 13
		.amdhsa_user_sgpr_dispatch_ptr 0
		.amdhsa_user_sgpr_queue_ptr 0
		.amdhsa_user_sgpr_kernarg_segment_ptr 1
		.amdhsa_user_sgpr_dispatch_id 0
		.amdhsa_user_sgpr_private_segment_size 0
		.amdhsa_wavefront_size32 1
		.amdhsa_uses_dynamic_stack 0
		.amdhsa_enable_private_segment 0
		.amdhsa_system_sgpr_workgroup_id_x 1
		.amdhsa_system_sgpr_workgroup_id_y 1
		.amdhsa_system_sgpr_workgroup_id_z 1
		.amdhsa_system_sgpr_workgroup_info 0
		.amdhsa_system_vgpr_workitem_id 1
		.amdhsa_next_free_vgpr 12
		.amdhsa_next_free_sgpr 24
		.amdhsa_reserve_vcc 1
		.amdhsa_float_round_mode_32 0
		.amdhsa_float_round_mode_16_64 0
		.amdhsa_float_denorm_mode_32 3
		.amdhsa_float_denorm_mode_16_64 3
		.amdhsa_dx10_clamp 1
		.amdhsa_ieee_mode 1
		.amdhsa_fp16_overflow 0
		.amdhsa_workgroup_processor_mode 1
		.amdhsa_memory_ordered 1
		.amdhsa_forward_progress 0
		.amdhsa_shared_vgpr_count 0
		.amdhsa_exception_fp_ieee_invalid_op 0
		.amdhsa_exception_fp_denorm_src 0
		.amdhsa_exception_fp_ieee_div_zero 0
		.amdhsa_exception_fp_ieee_overflow 0
		.amdhsa_exception_fp_ieee_underflow 0
		.amdhsa_exception_fp_ieee_inexact 0
		.amdhsa_exception_int_div_zero 0
	.end_amdhsa_kernel
	.section	.text._ZN2at6native31max_unpooling3d_backward_kernelIfEEvPKT_lllN5torch10headeronly6detail27GenericPackedTensorAccessorINS7_14TensorAccessorIN3c108ArrayRefIlEElLm3ENS6_16DefaultPtrTraitsElEENS_6detail16IndexBoundsCheckILm4ElEElLm4ESD_lEENS8_INS9_ISC_S2_Lm3ESD_lEESH_S2_Lm4ESD_lEEi,"axG",@progbits,_ZN2at6native31max_unpooling3d_backward_kernelIfEEvPKT_lllN5torch10headeronly6detail27GenericPackedTensorAccessorINS7_14TensorAccessorIN3c108ArrayRefIlEElLm3ENS6_16DefaultPtrTraitsElEENS_6detail16IndexBoundsCheckILm4ElEElLm4ESD_lEENS8_INS9_ISC_S2_Lm3ESD_lEESH_S2_Lm4ESD_lEEi,comdat
.Lfunc_end33:
	.size	_ZN2at6native31max_unpooling3d_backward_kernelIfEEvPKT_lllN5torch10headeronly6detail27GenericPackedTensorAccessorINS7_14TensorAccessorIN3c108ArrayRefIlEElLm3ENS6_16DefaultPtrTraitsElEENS_6detail16IndexBoundsCheckILm4ElEElLm4ESD_lEENS8_INS9_ISC_S2_Lm3ESD_lEESH_S2_Lm4ESD_lEEi, .Lfunc_end33-_ZN2at6native31max_unpooling3d_backward_kernelIfEEvPKT_lllN5torch10headeronly6detail27GenericPackedTensorAccessorINS7_14TensorAccessorIN3c108ArrayRefIlEElLm3ENS6_16DefaultPtrTraitsElEENS_6detail16IndexBoundsCheckILm4ElEElLm4ESD_lEENS8_INS9_ISC_S2_Lm3ESD_lEESH_S2_Lm4ESD_lEEi
                                        ; -- End function
	.section	.AMDGPU.csdata,"",@progbits
; Kernel info:
; codeLenInByte = 1508
; NumSgprs: 26
; NumVgprs: 12
; ScratchSize: 0
; MemoryBound: 0
; FloatMode: 240
; IeeeMode: 1
; LDSByteSize: 0 bytes/workgroup (compile time only)
; SGPRBlocks: 3
; VGPRBlocks: 1
; NumSGPRsForWavesPerEU: 26
; NumVGPRsForWavesPerEU: 12
; Occupancy: 16
; WaveLimiterHint : 1
; COMPUTE_PGM_RSRC2:SCRATCH_EN: 0
; COMPUTE_PGM_RSRC2:USER_SGPR: 13
; COMPUTE_PGM_RSRC2:TRAP_HANDLER: 0
; COMPUTE_PGM_RSRC2:TGID_X_EN: 1
; COMPUTE_PGM_RSRC2:TGID_Y_EN: 1
; COMPUTE_PGM_RSRC2:TGID_Z_EN: 1
; COMPUTE_PGM_RSRC2:TIDIG_COMP_CNT: 1
	.section	.text._ZN2at6native31max_unpooling3d_backward_kernelIN3c104HalfEEEvPKT_lllN5torch10headeronly6detail27GenericPackedTensorAccessorINS9_14TensorAccessorINS2_8ArrayRefIlEElLm3ENS8_16DefaultPtrTraitsElEENS_6detail16IndexBoundsCheckILm4ElEElLm4ESE_lEENSA_INSB_ISD_S4_Lm3ESE_lEESI_S4_Lm4ESE_lEEi,"axG",@progbits,_ZN2at6native31max_unpooling3d_backward_kernelIN3c104HalfEEEvPKT_lllN5torch10headeronly6detail27GenericPackedTensorAccessorINS9_14TensorAccessorINS2_8ArrayRefIlEElLm3ENS8_16DefaultPtrTraitsElEENS_6detail16IndexBoundsCheckILm4ElEElLm4ESE_lEENSA_INSB_ISD_S4_Lm3ESE_lEESI_S4_Lm4ESE_lEEi,comdat
	.protected	_ZN2at6native31max_unpooling3d_backward_kernelIN3c104HalfEEEvPKT_lllN5torch10headeronly6detail27GenericPackedTensorAccessorINS9_14TensorAccessorINS2_8ArrayRefIlEElLm3ENS8_16DefaultPtrTraitsElEENS_6detail16IndexBoundsCheckILm4ElEElLm4ESE_lEENSA_INSB_ISD_S4_Lm3ESE_lEESI_S4_Lm4ESE_lEEi ; -- Begin function _ZN2at6native31max_unpooling3d_backward_kernelIN3c104HalfEEEvPKT_lllN5torch10headeronly6detail27GenericPackedTensorAccessorINS9_14TensorAccessorINS2_8ArrayRefIlEElLm3ENS8_16DefaultPtrTraitsElEENS_6detail16IndexBoundsCheckILm4ElEElLm4ESE_lEENSA_INSB_ISD_S4_Lm3ESE_lEESI_S4_Lm4ESE_lEEi
	.globl	_ZN2at6native31max_unpooling3d_backward_kernelIN3c104HalfEEEvPKT_lllN5torch10headeronly6detail27GenericPackedTensorAccessorINS9_14TensorAccessorINS2_8ArrayRefIlEElLm3ENS8_16DefaultPtrTraitsElEENS_6detail16IndexBoundsCheckILm4ElEElLm4ESE_lEENSA_INSB_ISD_S4_Lm3ESE_lEESI_S4_Lm4ESE_lEEi
	.p2align	8
	.type	_ZN2at6native31max_unpooling3d_backward_kernelIN3c104HalfEEEvPKT_lllN5torch10headeronly6detail27GenericPackedTensorAccessorINS9_14TensorAccessorINS2_8ArrayRefIlEElLm3ENS8_16DefaultPtrTraitsElEENS_6detail16IndexBoundsCheckILm4ElEElLm4ESE_lEENSA_INSB_ISD_S4_Lm3ESE_lEESI_S4_Lm4ESE_lEEi,@function
_ZN2at6native31max_unpooling3d_backward_kernelIN3c104HalfEEEvPKT_lllN5torch10headeronly6detail27GenericPackedTensorAccessorINS9_14TensorAccessorINS2_8ArrayRefIlEElLm3ENS8_16DefaultPtrTraitsElEENS_6detail16IndexBoundsCheckILm4ElEElLm4ESE_lEENSA_INSB_ISD_S4_Lm3ESE_lEESI_S4_Lm4ESE_lEEi: ; @_ZN2at6native31max_unpooling3d_backward_kernelIN3c104HalfEEEvPKT_lllN5torch10headeronly6detail27GenericPackedTensorAccessorINS9_14TensorAccessorINS2_8ArrayRefIlEElLm3ENS8_16DefaultPtrTraitsElEENS_6detail16IndexBoundsCheckILm4ElEElLm4ESE_lEENSA_INSB_ISD_S4_Lm3ESE_lEESI_S4_Lm4ESE_lEEi
; %bb.0:
	s_clause 0x2
	s_load_b64 s[2:3], s[0:1], 0x78
	s_load_b32 s8, s[0:1], 0xb0
	s_load_b32 s18, s[0:1], 0xc4
	s_add_u32 s4, s0, 0xb8
	s_mov_b32 s6, 0
	s_addc_u32 s5, s1, 0
	s_waitcnt lgkmcnt(0)
	s_mov_b32 s7, s3
	s_add_i32 s12, s15, s8
	s_cmp_lg_u64 s[6:7], 0
	s_cbranch_scc0 .LBB34_7
; %bb.1:
	s_ashr_i32 s8, s3, 31
	s_delay_alu instid0(SALU_CYCLE_1) | instskip(SKIP_2) | instid1(SALU_CYCLE_1)
	s_add_u32 s10, s2, s8
	s_mov_b32 s9, s8
	s_addc_u32 s11, s3, s8
	s_xor_b64 s[10:11], s[10:11], s[8:9]
	s_delay_alu instid0(SALU_CYCLE_1) | instskip(SKIP_3) | instid1(VALU_DEP_1)
	v_cvt_f32_u32_e32 v1, s10
	v_cvt_f32_u32_e32 v2, s11
	s_sub_u32 s15, 0, s10
	s_subb_u32 s16, 0, s11
	v_fmamk_f32 v1, v2, 0x4f800000, v1
	s_delay_alu instid0(VALU_DEP_1) | instskip(SKIP_2) | instid1(VALU_DEP_1)
	v_rcp_f32_e32 v1, v1
	s_waitcnt_depctr 0xfff
	v_mul_f32_e32 v1, 0x5f7ffffc, v1
	v_mul_f32_e32 v2, 0x2f800000, v1
	s_delay_alu instid0(VALU_DEP_1) | instskip(NEXT) | instid1(VALU_DEP_1)
	v_trunc_f32_e32 v2, v2
	v_fmamk_f32 v1, v2, 0xcf800000, v1
	v_cvt_u32_f32_e32 v2, v2
	s_delay_alu instid0(VALU_DEP_2) | instskip(NEXT) | instid1(VALU_DEP_2)
	v_cvt_u32_f32_e32 v1, v1
	v_readfirstlane_b32 s3, v2
	s_delay_alu instid0(VALU_DEP_2) | instskip(NEXT) | instid1(VALU_DEP_2)
	v_readfirstlane_b32 s7, v1
	s_mul_i32 s17, s15, s3
	s_delay_alu instid0(VALU_DEP_1)
	s_mul_hi_u32 s20, s15, s7
	s_mul_i32 s19, s16, s7
	s_add_i32 s17, s20, s17
	s_mul_i32 s21, s15, s7
	s_add_i32 s17, s17, s19
	s_mul_hi_u32 s20, s7, s21
	s_mul_hi_u32 s22, s3, s21
	s_mul_i32 s19, s3, s21
	s_mul_hi_u32 s21, s7, s17
	s_mul_i32 s7, s7, s17
	s_mul_hi_u32 s23, s3, s17
	s_add_u32 s7, s20, s7
	s_addc_u32 s20, 0, s21
	s_add_u32 s7, s7, s19
	s_mul_i32 s17, s3, s17
	s_addc_u32 s7, s20, s22
	s_addc_u32 s19, s23, 0
	s_add_u32 s7, s7, s17
	s_addc_u32 s17, 0, s19
	v_add_co_u32 v1, s7, v1, s7
	s_delay_alu instid0(VALU_DEP_1) | instskip(SKIP_1) | instid1(VALU_DEP_1)
	s_cmp_lg_u32 s7, 0
	s_addc_u32 s3, s3, s17
	v_readfirstlane_b32 s7, v1
	s_mul_i32 s17, s15, s3
	s_delay_alu instid0(VALU_DEP_1)
	s_mul_hi_u32 s19, s15, s7
	s_mul_i32 s16, s16, s7
	s_add_i32 s17, s19, s17
	s_mul_i32 s15, s15, s7
	s_add_i32 s17, s17, s16
	s_mul_hi_u32 s19, s3, s15
	s_mul_i32 s20, s3, s15
	s_mul_hi_u32 s15, s7, s15
	s_mul_hi_u32 s21, s7, s17
	s_mul_i32 s7, s7, s17
	s_mul_hi_u32 s16, s3, s17
	s_add_u32 s7, s15, s7
	s_addc_u32 s15, 0, s21
	s_add_u32 s7, s7, s20
	s_mul_i32 s17, s3, s17
	s_addc_u32 s7, s15, s19
	s_addc_u32 s15, s16, 0
	s_add_u32 s7, s7, s17
	s_addc_u32 s15, 0, s15
	v_add_co_u32 v1, s7, v1, s7
	s_delay_alu instid0(VALU_DEP_1) | instskip(SKIP_1) | instid1(VALU_DEP_1)
	s_cmp_lg_u32 s7, 0
	s_addc_u32 s3, s3, s15
	v_readfirstlane_b32 s7, v1
	s_mul_i32 s15, s12, s3
	s_mul_hi_u32 s3, s12, s3
	s_delay_alu instid0(VALU_DEP_1) | instskip(NEXT) | instid1(SALU_CYCLE_1)
	s_mul_hi_u32 s7, s12, s7
	s_add_u32 s7, s7, s15
	s_addc_u32 s3, 0, s3
	s_add_u32 s7, s7, 0
	s_addc_u32 s3, s3, 0
	s_addc_u32 s7, 0, 0
	s_add_u32 s3, s3, 0
	s_addc_u32 s7, 0, s7
	s_mul_hi_u32 s15, s10, s3
	s_mul_i32 s17, s10, s7
	s_mul_i32 s19, s10, s3
	s_add_i32 s15, s15, s17
	v_sub_co_u32 v1, s17, s12, s19
	s_mul_i32 s16, s11, s3
	s_delay_alu instid0(SALU_CYCLE_1) | instskip(NEXT) | instid1(VALU_DEP_1)
	s_add_i32 s15, s15, s16
	v_sub_co_u32 v2, s19, v1, s10
	s_sub_i32 s16, 0, s15
	s_cmp_lg_u32 s17, 0
	s_subb_u32 s16, s16, s11
	s_cmp_lg_u32 s19, 0
	v_readfirstlane_b32 s19, v2
	s_subb_u32 s16, s16, 0
	s_delay_alu instid0(SALU_CYCLE_1) | instskip(SKIP_1) | instid1(VALU_DEP_1)
	s_cmp_ge_u32 s16, s11
	s_cselect_b32 s20, -1, 0
	s_cmp_ge_u32 s19, s10
	s_cselect_b32 s19, -1, 0
	s_cmp_eq_u32 s16, s11
	s_cselect_b32 s16, s19, s20
	s_add_u32 s19, s3, 1
	s_addc_u32 s20, s7, 0
	s_add_u32 s21, s3, 2
	s_addc_u32 s22, s7, 0
	s_cmp_lg_u32 s16, 0
	s_cselect_b32 s16, s21, s19
	s_cselect_b32 s19, s22, s20
	s_cmp_lg_u32 s17, 0
	v_readfirstlane_b32 s17, v1
	s_subb_u32 s15, 0, s15
	s_delay_alu instid0(SALU_CYCLE_1) | instskip(SKIP_1) | instid1(VALU_DEP_1)
	s_cmp_ge_u32 s15, s11
	s_cselect_b32 s20, -1, 0
	s_cmp_ge_u32 s17, s10
	s_cselect_b32 s10, -1, 0
	s_cmp_eq_u32 s15, s11
	s_cselect_b32 s10, s10, s20
	s_delay_alu instid0(SALU_CYCLE_1) | instskip(SKIP_2) | instid1(SALU_CYCLE_1)
	s_cmp_lg_u32 s10, 0
	s_cselect_b32 s11, s19, s7
	s_cselect_b32 s10, s16, s3
	s_xor_b64 s[10:11], s[10:11], s[8:9]
	s_delay_alu instid0(SALU_CYCLE_1)
	s_sub_u32 s16, s10, s8
	s_subb_u32 s17, s11, s8
	s_and_not1_b32 vcc_lo, exec_lo, s6
	s_lshr_b32 s3, s18, 16
	s_cbranch_vccnz .LBB34_3
.LBB34_2:
	v_cvt_f32_u32_e32 v1, s2
	s_sub_i32 s7, 0, s2
	s_mov_b32 s17, 0
	s_delay_alu instid0(VALU_DEP_1) | instskip(SKIP_2) | instid1(VALU_DEP_1)
	v_rcp_iflag_f32_e32 v1, v1
	s_waitcnt_depctr 0xfff
	v_mul_f32_e32 v1, 0x4f7ffffe, v1
	v_cvt_u32_f32_e32 v1, v1
	s_delay_alu instid0(VALU_DEP_1) | instskip(NEXT) | instid1(VALU_DEP_1)
	v_readfirstlane_b32 s6, v1
	s_mul_i32 s7, s7, s6
	s_delay_alu instid0(SALU_CYCLE_1) | instskip(NEXT) | instid1(SALU_CYCLE_1)
	s_mul_hi_u32 s7, s6, s7
	s_add_i32 s6, s6, s7
	s_delay_alu instid0(SALU_CYCLE_1) | instskip(NEXT) | instid1(SALU_CYCLE_1)
	s_mul_hi_u32 s6, s12, s6
	s_mul_i32 s7, s6, s2
	s_add_i32 s8, s6, 1
	s_sub_i32 s7, s12, s7
	s_delay_alu instid0(SALU_CYCLE_1)
	s_sub_i32 s9, s7, s2
	s_cmp_ge_u32 s7, s2
	s_cselect_b32 s6, s8, s6
	s_cselect_b32 s7, s9, s7
	s_add_i32 s8, s6, 1
	s_cmp_ge_u32 s7, s2
	s_cselect_b32 s16, s8, s6
.LBB34_3:
	s_load_b64 s[6:7], s[0:1], 0x80
	v_bfe_u32 v3, v0, 10, 10
	s_and_b32 s3, 0xffff, s3
	s_delay_alu instid0(VALU_DEP_1) | instid1(SALU_CYCLE_1)
	v_mad_u64_u32 v[1:2], null, s14, s3, v[3:4]
	s_mov_b32 s3, exec_lo
	s_delay_alu instid0(VALU_DEP_1) | instskip(SKIP_1) | instid1(VALU_DEP_1)
	v_ashrrev_i32_e32 v2, 31, v1
	s_waitcnt lgkmcnt(0)
	v_cmpx_gt_i64_e64 s[6:7], v[1:2]
	s_cbranch_execz .LBB34_6
; %bb.4:
	s_load_b32 s3, s[4:5], 0xc
	s_load_b64 s[4:5], s[0:1], 0x88
	v_and_b32_e32 v0, 0x3ff, v0
	s_waitcnt lgkmcnt(0)
	s_and_b32 s3, s3, 0xffff
	s_delay_alu instid0(VALU_DEP_1) | instid1(SALU_CYCLE_1)
	v_mad_u64_u32 v[3:4], null, s13, s3, v[0:1]
	s_delay_alu instid0(VALU_DEP_1) | instskip(NEXT) | instid1(VALU_DEP_1)
	v_ashrrev_i32_e32 v4, 31, v3
	v_cmp_gt_i64_e32 vcc_lo, s[4:5], v[3:4]
	s_and_b32 exec_lo, exec_lo, vcc_lo
	s_cbranch_execz .LBB34_6
; %bb.5:
	s_clause 0x1
	s_load_b256 s[4:11], s[0:1], 0x48
	s_load_b64 s[14:15], s[0:1], 0x20
	s_mul_i32 s13, s16, s2
	s_bfe_i64 s[2:3], s[16:17], 0x200000
	s_sub_i32 s12, s12, s13
	s_waitcnt lgkmcnt(0)
	s_mul_i32 s2, s4, s3
	s_mul_hi_u32 s13, s4, s16
	s_mul_i32 s5, s5, s16
	v_mul_lo_u32 v0, s9, v1
	v_mul_lo_u32 v9, s8, v2
	v_mad_u64_u32 v[5:6], null, s8, v1, 0
	s_add_i32 s2, s13, s2
	s_mul_i32 s4, s4, s16
	s_add_i32 s5, s2, s5
	v_mul_lo_u32 v10, s11, v3
	s_lshl_b64 s[4:5], s[4:5], 3
	v_mul_lo_u32 v11, s10, v4
	v_mad_u64_u32 v[7:8], null, s10, v3, 0
	s_mul_i32 s2, s7, s12
	s_add_u32 s7, s14, s4
	s_addc_u32 s8, s15, s5
	s_ashr_i32 s13, s12, 31
	v_add3_u32 v6, v6, v9, v0
	s_mul_hi_u32 s17, s6, s12
	s_mul_i32 s4, s6, s13
	v_add3_u32 v8, v8, v11, v10
	s_add_i32 s5, s17, s4
	s_mul_i32 s4, s6, s12
	s_add_i32 s5, s5, s2
	v_lshlrev_b64 v[5:6], 3, v[5:6]
	s_lshl_b64 s[4:5], s[4:5], 3
	v_lshlrev_b64 v[7:8], 3, v[7:8]
	s_add_u32 s2, s7, s4
	s_addc_u32 s4, s8, s5
	s_delay_alu instid0(VALU_DEP_2) | instskip(SKIP_2) | instid1(VALU_DEP_2)
	v_add_co_u32 v0, vcc_lo, s2, v5
	v_add_co_ci_u32_e32 v6, vcc_lo, s4, v6, vcc_lo
	s_load_b256 s[4:11], s[0:1], 0x0
	v_add_co_u32 v5, vcc_lo, v0, v7
	s_delay_alu instid0(VALU_DEP_2)
	v_add_co_ci_u32_e32 v6, vcc_lo, v6, v8, vcc_lo
	global_load_b64 v[5:6], v[5:6], off
	s_waitcnt lgkmcnt(0)
	s_mul_i32 s2, s8, s7
	s_mul_hi_u32 s7, s8, s6
	s_mul_i32 s8, s8, s6
	s_mul_i32 s6, s9, s6
	s_add_i32 s2, s7, s2
	s_mul_i32 s9, s8, s11
	s_mul_hi_u32 s11, s8, s10
	s_add_i32 s2, s2, s6
	s_mul_i32 s8, s8, s10
	s_add_i32 s6, s11, s9
	s_mul_i32 s2, s2, s10
	s_mul_i32 s7, s8, s3
	s_mul_hi_u32 s9, s8, s16
	s_add_i32 s2, s6, s2
	s_add_i32 s7, s9, s7
	s_mul_i32 s2, s2, s16
	s_mul_i32 s6, s8, s16
	s_add_i32 s7, s7, s2
	s_delay_alu instid0(SALU_CYCLE_1) | instskip(NEXT) | instid1(SALU_CYCLE_1)
	s_lshl_b64 s[6:7], s[6:7], 1
	s_add_u32 s2, s4, s6
	s_addc_u32 s4, s5, s7
	s_waitcnt vmcnt(0)
	v_lshlrev_b64 v[5:6], 1, v[5:6]
	s_delay_alu instid0(VALU_DEP_1) | instskip(NEXT) | instid1(VALU_DEP_2)
	v_add_co_u32 v5, vcc_lo, s2, v5
	v_add_co_ci_u32_e32 v6, vcc_lo, s4, v6, vcc_lo
	global_load_u16 v7, v[5:6], off
	s_clause 0x1
	s_load_b256 s[4:11], s[0:1], 0x90
	s_load_b64 s[0:1], s[0:1], 0x68
	s_waitcnt lgkmcnt(0)
	v_mul_lo_u32 v8, s9, v1
	v_mul_lo_u32 v2, s8, v2
	v_mad_u64_u32 v[5:6], null, s8, v1, 0
	s_mul_i32 s2, s4, s3
	s_mul_hi_u32 s3, s4, s16
	v_mul_lo_u32 v9, s11, v3
	s_add_i32 s2, s3, s2
	s_mul_i32 s3, s5, s16
	v_mul_lo_u32 v4, s10, v4
	s_add_i32 s3, s2, s3
	s_mul_i32 s2, s4, s16
	v_mad_u64_u32 v[0:1], null, s10, v3, 0
	s_lshl_b64 s[2:3], s[2:3], 1
	v_add3_u32 v6, v6, v2, v8
	s_add_u32 s2, s0, s2
	s_mul_i32 s0, s6, s13
	s_mul_hi_u32 s4, s6, s12
	s_addc_u32 s3, s1, s3
	s_add_i32 s0, s4, s0
	s_mul_i32 s1, s7, s12
	v_add3_u32 v1, v1, v4, v9
	s_add_i32 s1, s0, s1
	s_mul_i32 s0, s6, s12
	v_lshlrev_b64 v[2:3], 1, v[5:6]
	s_lshl_b64 s[0:1], s[0:1], 1
	v_lshlrev_b64 v[0:1], 1, v[0:1]
	s_add_u32 s0, s2, s0
	s_addc_u32 s1, s3, s1
	s_delay_alu instid0(VALU_DEP_2) | instskip(SKIP_1) | instid1(VALU_DEP_2)
	v_add_co_u32 v2, vcc_lo, s0, v2
	v_add_co_ci_u32_e32 v3, vcc_lo, s1, v3, vcc_lo
	v_add_co_u32 v0, vcc_lo, v2, v0
	s_delay_alu instid0(VALU_DEP_2)
	v_add_co_ci_u32_e32 v1, vcc_lo, v3, v1, vcc_lo
	s_waitcnt vmcnt(0)
	global_store_b16 v[0:1], v7, off
.LBB34_6:
	s_nop 0
	s_sendmsg sendmsg(MSG_DEALLOC_VGPRS)
	s_endpgm
.LBB34_7:
                                        ; implicit-def: $sgpr16_sgpr17
	s_lshr_b32 s3, s18, 16
	s_branch .LBB34_2
	.section	.rodata,"a",@progbits
	.p2align	6, 0x0
	.amdhsa_kernel _ZN2at6native31max_unpooling3d_backward_kernelIN3c104HalfEEEvPKT_lllN5torch10headeronly6detail27GenericPackedTensorAccessorINS9_14TensorAccessorINS2_8ArrayRefIlEElLm3ENS8_16DefaultPtrTraitsElEENS_6detail16IndexBoundsCheckILm4ElEElLm4ESE_lEENSA_INSB_ISD_S4_Lm3ESE_lEESI_S4_Lm4ESE_lEEi
		.amdhsa_group_segment_fixed_size 0
		.amdhsa_private_segment_fixed_size 0
		.amdhsa_kernarg_size 440
		.amdhsa_user_sgpr_count 13
		.amdhsa_user_sgpr_dispatch_ptr 0
		.amdhsa_user_sgpr_queue_ptr 0
		.amdhsa_user_sgpr_kernarg_segment_ptr 1
		.amdhsa_user_sgpr_dispatch_id 0
		.amdhsa_user_sgpr_private_segment_size 0
		.amdhsa_wavefront_size32 1
		.amdhsa_uses_dynamic_stack 0
		.amdhsa_enable_private_segment 0
		.amdhsa_system_sgpr_workgroup_id_x 1
		.amdhsa_system_sgpr_workgroup_id_y 1
		.amdhsa_system_sgpr_workgroup_id_z 1
		.amdhsa_system_sgpr_workgroup_info 0
		.amdhsa_system_vgpr_workitem_id 1
		.amdhsa_next_free_vgpr 12
		.amdhsa_next_free_sgpr 24
		.amdhsa_reserve_vcc 1
		.amdhsa_float_round_mode_32 0
		.amdhsa_float_round_mode_16_64 0
		.amdhsa_float_denorm_mode_32 3
		.amdhsa_float_denorm_mode_16_64 3
		.amdhsa_dx10_clamp 1
		.amdhsa_ieee_mode 1
		.amdhsa_fp16_overflow 0
		.amdhsa_workgroup_processor_mode 1
		.amdhsa_memory_ordered 1
		.amdhsa_forward_progress 0
		.amdhsa_shared_vgpr_count 0
		.amdhsa_exception_fp_ieee_invalid_op 0
		.amdhsa_exception_fp_denorm_src 0
		.amdhsa_exception_fp_ieee_div_zero 0
		.amdhsa_exception_fp_ieee_overflow 0
		.amdhsa_exception_fp_ieee_underflow 0
		.amdhsa_exception_fp_ieee_inexact 0
		.amdhsa_exception_int_div_zero 0
	.end_amdhsa_kernel
	.section	.text._ZN2at6native31max_unpooling3d_backward_kernelIN3c104HalfEEEvPKT_lllN5torch10headeronly6detail27GenericPackedTensorAccessorINS9_14TensorAccessorINS2_8ArrayRefIlEElLm3ENS8_16DefaultPtrTraitsElEENS_6detail16IndexBoundsCheckILm4ElEElLm4ESE_lEENSA_INSB_ISD_S4_Lm3ESE_lEESI_S4_Lm4ESE_lEEi,"axG",@progbits,_ZN2at6native31max_unpooling3d_backward_kernelIN3c104HalfEEEvPKT_lllN5torch10headeronly6detail27GenericPackedTensorAccessorINS9_14TensorAccessorINS2_8ArrayRefIlEElLm3ENS8_16DefaultPtrTraitsElEENS_6detail16IndexBoundsCheckILm4ElEElLm4ESE_lEENSA_INSB_ISD_S4_Lm3ESE_lEESI_S4_Lm4ESE_lEEi,comdat
.Lfunc_end34:
	.size	_ZN2at6native31max_unpooling3d_backward_kernelIN3c104HalfEEEvPKT_lllN5torch10headeronly6detail27GenericPackedTensorAccessorINS9_14TensorAccessorINS2_8ArrayRefIlEElLm3ENS8_16DefaultPtrTraitsElEENS_6detail16IndexBoundsCheckILm4ElEElLm4ESE_lEENSA_INSB_ISD_S4_Lm3ESE_lEESI_S4_Lm4ESE_lEEi, .Lfunc_end34-_ZN2at6native31max_unpooling3d_backward_kernelIN3c104HalfEEEvPKT_lllN5torch10headeronly6detail27GenericPackedTensorAccessorINS9_14TensorAccessorINS2_8ArrayRefIlEElLm3ENS8_16DefaultPtrTraitsElEENS_6detail16IndexBoundsCheckILm4ElEElLm4ESE_lEENSA_INSB_ISD_S4_Lm3ESE_lEESI_S4_Lm4ESE_lEEi
                                        ; -- End function
	.section	.AMDGPU.csdata,"",@progbits
; Kernel info:
; codeLenInByte = 1508
; NumSgprs: 26
; NumVgprs: 12
; ScratchSize: 0
; MemoryBound: 0
; FloatMode: 240
; IeeeMode: 1
; LDSByteSize: 0 bytes/workgroup (compile time only)
; SGPRBlocks: 3
; VGPRBlocks: 1
; NumSGPRsForWavesPerEU: 26
; NumVGPRsForWavesPerEU: 12
; Occupancy: 16
; WaveLimiterHint : 1
; COMPUTE_PGM_RSRC2:SCRATCH_EN: 0
; COMPUTE_PGM_RSRC2:USER_SGPR: 13
; COMPUTE_PGM_RSRC2:TRAP_HANDLER: 0
; COMPUTE_PGM_RSRC2:TGID_X_EN: 1
; COMPUTE_PGM_RSRC2:TGID_Y_EN: 1
; COMPUTE_PGM_RSRC2:TGID_Z_EN: 1
; COMPUTE_PGM_RSRC2:TIDIG_COMP_CNT: 1
	.section	.text._ZN2at6native31max_unpooling3d_backward_kernelIN3c108BFloat16EEEvPKT_lllN5torch10headeronly6detail27GenericPackedTensorAccessorINS9_14TensorAccessorINS2_8ArrayRefIlEElLm3ENS8_16DefaultPtrTraitsElEENS_6detail16IndexBoundsCheckILm4ElEElLm4ESE_lEENSA_INSB_ISD_S4_Lm3ESE_lEESI_S4_Lm4ESE_lEEi,"axG",@progbits,_ZN2at6native31max_unpooling3d_backward_kernelIN3c108BFloat16EEEvPKT_lllN5torch10headeronly6detail27GenericPackedTensorAccessorINS9_14TensorAccessorINS2_8ArrayRefIlEElLm3ENS8_16DefaultPtrTraitsElEENS_6detail16IndexBoundsCheckILm4ElEElLm4ESE_lEENSA_INSB_ISD_S4_Lm3ESE_lEESI_S4_Lm4ESE_lEEi,comdat
	.protected	_ZN2at6native31max_unpooling3d_backward_kernelIN3c108BFloat16EEEvPKT_lllN5torch10headeronly6detail27GenericPackedTensorAccessorINS9_14TensorAccessorINS2_8ArrayRefIlEElLm3ENS8_16DefaultPtrTraitsElEENS_6detail16IndexBoundsCheckILm4ElEElLm4ESE_lEENSA_INSB_ISD_S4_Lm3ESE_lEESI_S4_Lm4ESE_lEEi ; -- Begin function _ZN2at6native31max_unpooling3d_backward_kernelIN3c108BFloat16EEEvPKT_lllN5torch10headeronly6detail27GenericPackedTensorAccessorINS9_14TensorAccessorINS2_8ArrayRefIlEElLm3ENS8_16DefaultPtrTraitsElEENS_6detail16IndexBoundsCheckILm4ElEElLm4ESE_lEENSA_INSB_ISD_S4_Lm3ESE_lEESI_S4_Lm4ESE_lEEi
	.globl	_ZN2at6native31max_unpooling3d_backward_kernelIN3c108BFloat16EEEvPKT_lllN5torch10headeronly6detail27GenericPackedTensorAccessorINS9_14TensorAccessorINS2_8ArrayRefIlEElLm3ENS8_16DefaultPtrTraitsElEENS_6detail16IndexBoundsCheckILm4ElEElLm4ESE_lEENSA_INSB_ISD_S4_Lm3ESE_lEESI_S4_Lm4ESE_lEEi
	.p2align	8
	.type	_ZN2at6native31max_unpooling3d_backward_kernelIN3c108BFloat16EEEvPKT_lllN5torch10headeronly6detail27GenericPackedTensorAccessorINS9_14TensorAccessorINS2_8ArrayRefIlEElLm3ENS8_16DefaultPtrTraitsElEENS_6detail16IndexBoundsCheckILm4ElEElLm4ESE_lEENSA_INSB_ISD_S4_Lm3ESE_lEESI_S4_Lm4ESE_lEEi,@function
_ZN2at6native31max_unpooling3d_backward_kernelIN3c108BFloat16EEEvPKT_lllN5torch10headeronly6detail27GenericPackedTensorAccessorINS9_14TensorAccessorINS2_8ArrayRefIlEElLm3ENS8_16DefaultPtrTraitsElEENS_6detail16IndexBoundsCheckILm4ElEElLm4ESE_lEENSA_INSB_ISD_S4_Lm3ESE_lEESI_S4_Lm4ESE_lEEi: ; @_ZN2at6native31max_unpooling3d_backward_kernelIN3c108BFloat16EEEvPKT_lllN5torch10headeronly6detail27GenericPackedTensorAccessorINS9_14TensorAccessorINS2_8ArrayRefIlEElLm3ENS8_16DefaultPtrTraitsElEENS_6detail16IndexBoundsCheckILm4ElEElLm4ESE_lEENSA_INSB_ISD_S4_Lm3ESE_lEESI_S4_Lm4ESE_lEEi
; %bb.0:
	s_clause 0x2
	s_load_b64 s[2:3], s[0:1], 0x78
	s_load_b32 s8, s[0:1], 0xb0
	s_load_b32 s18, s[0:1], 0xc4
	s_add_u32 s4, s0, 0xb8
	s_mov_b32 s6, 0
	s_addc_u32 s5, s1, 0
	s_waitcnt lgkmcnt(0)
	s_mov_b32 s7, s3
	s_add_i32 s12, s15, s8
	s_cmp_lg_u64 s[6:7], 0
	s_cbranch_scc0 .LBB35_7
; %bb.1:
	s_ashr_i32 s8, s3, 31
	s_delay_alu instid0(SALU_CYCLE_1) | instskip(SKIP_2) | instid1(SALU_CYCLE_1)
	s_add_u32 s10, s2, s8
	s_mov_b32 s9, s8
	s_addc_u32 s11, s3, s8
	s_xor_b64 s[10:11], s[10:11], s[8:9]
	s_delay_alu instid0(SALU_CYCLE_1) | instskip(SKIP_3) | instid1(VALU_DEP_1)
	v_cvt_f32_u32_e32 v1, s10
	v_cvt_f32_u32_e32 v2, s11
	s_sub_u32 s15, 0, s10
	s_subb_u32 s16, 0, s11
	v_fmamk_f32 v1, v2, 0x4f800000, v1
	s_delay_alu instid0(VALU_DEP_1) | instskip(SKIP_2) | instid1(VALU_DEP_1)
	v_rcp_f32_e32 v1, v1
	s_waitcnt_depctr 0xfff
	v_mul_f32_e32 v1, 0x5f7ffffc, v1
	v_mul_f32_e32 v2, 0x2f800000, v1
	s_delay_alu instid0(VALU_DEP_1) | instskip(NEXT) | instid1(VALU_DEP_1)
	v_trunc_f32_e32 v2, v2
	v_fmamk_f32 v1, v2, 0xcf800000, v1
	v_cvt_u32_f32_e32 v2, v2
	s_delay_alu instid0(VALU_DEP_2) | instskip(NEXT) | instid1(VALU_DEP_2)
	v_cvt_u32_f32_e32 v1, v1
	v_readfirstlane_b32 s3, v2
	s_delay_alu instid0(VALU_DEP_2) | instskip(NEXT) | instid1(VALU_DEP_2)
	v_readfirstlane_b32 s7, v1
	s_mul_i32 s17, s15, s3
	s_delay_alu instid0(VALU_DEP_1)
	s_mul_hi_u32 s20, s15, s7
	s_mul_i32 s19, s16, s7
	s_add_i32 s17, s20, s17
	s_mul_i32 s21, s15, s7
	s_add_i32 s17, s17, s19
	s_mul_hi_u32 s20, s7, s21
	s_mul_hi_u32 s22, s3, s21
	s_mul_i32 s19, s3, s21
	s_mul_hi_u32 s21, s7, s17
	s_mul_i32 s7, s7, s17
	s_mul_hi_u32 s23, s3, s17
	s_add_u32 s7, s20, s7
	s_addc_u32 s20, 0, s21
	s_add_u32 s7, s7, s19
	s_mul_i32 s17, s3, s17
	s_addc_u32 s7, s20, s22
	s_addc_u32 s19, s23, 0
	s_add_u32 s7, s7, s17
	s_addc_u32 s17, 0, s19
	v_add_co_u32 v1, s7, v1, s7
	s_delay_alu instid0(VALU_DEP_1) | instskip(SKIP_1) | instid1(VALU_DEP_1)
	s_cmp_lg_u32 s7, 0
	s_addc_u32 s3, s3, s17
	v_readfirstlane_b32 s7, v1
	s_mul_i32 s17, s15, s3
	s_delay_alu instid0(VALU_DEP_1)
	s_mul_hi_u32 s19, s15, s7
	s_mul_i32 s16, s16, s7
	s_add_i32 s17, s19, s17
	s_mul_i32 s15, s15, s7
	s_add_i32 s17, s17, s16
	s_mul_hi_u32 s19, s3, s15
	s_mul_i32 s20, s3, s15
	s_mul_hi_u32 s15, s7, s15
	s_mul_hi_u32 s21, s7, s17
	s_mul_i32 s7, s7, s17
	s_mul_hi_u32 s16, s3, s17
	s_add_u32 s7, s15, s7
	s_addc_u32 s15, 0, s21
	s_add_u32 s7, s7, s20
	s_mul_i32 s17, s3, s17
	s_addc_u32 s7, s15, s19
	s_addc_u32 s15, s16, 0
	s_add_u32 s7, s7, s17
	s_addc_u32 s15, 0, s15
	v_add_co_u32 v1, s7, v1, s7
	s_delay_alu instid0(VALU_DEP_1) | instskip(SKIP_1) | instid1(VALU_DEP_1)
	s_cmp_lg_u32 s7, 0
	s_addc_u32 s3, s3, s15
	v_readfirstlane_b32 s7, v1
	s_mul_i32 s15, s12, s3
	s_mul_hi_u32 s3, s12, s3
	s_delay_alu instid0(VALU_DEP_1) | instskip(NEXT) | instid1(SALU_CYCLE_1)
	s_mul_hi_u32 s7, s12, s7
	s_add_u32 s7, s7, s15
	s_addc_u32 s3, 0, s3
	s_add_u32 s7, s7, 0
	s_addc_u32 s3, s3, 0
	s_addc_u32 s7, 0, 0
	s_add_u32 s3, s3, 0
	s_addc_u32 s7, 0, s7
	s_mul_hi_u32 s15, s10, s3
	s_mul_i32 s17, s10, s7
	s_mul_i32 s19, s10, s3
	s_add_i32 s15, s15, s17
	v_sub_co_u32 v1, s17, s12, s19
	s_mul_i32 s16, s11, s3
	s_delay_alu instid0(SALU_CYCLE_1) | instskip(NEXT) | instid1(VALU_DEP_1)
	s_add_i32 s15, s15, s16
	v_sub_co_u32 v2, s19, v1, s10
	s_sub_i32 s16, 0, s15
	s_cmp_lg_u32 s17, 0
	s_subb_u32 s16, s16, s11
	s_cmp_lg_u32 s19, 0
	v_readfirstlane_b32 s19, v2
	s_subb_u32 s16, s16, 0
	s_delay_alu instid0(SALU_CYCLE_1) | instskip(SKIP_1) | instid1(VALU_DEP_1)
	s_cmp_ge_u32 s16, s11
	s_cselect_b32 s20, -1, 0
	s_cmp_ge_u32 s19, s10
	s_cselect_b32 s19, -1, 0
	s_cmp_eq_u32 s16, s11
	s_cselect_b32 s16, s19, s20
	s_add_u32 s19, s3, 1
	s_addc_u32 s20, s7, 0
	s_add_u32 s21, s3, 2
	s_addc_u32 s22, s7, 0
	s_cmp_lg_u32 s16, 0
	s_cselect_b32 s16, s21, s19
	s_cselect_b32 s19, s22, s20
	s_cmp_lg_u32 s17, 0
	v_readfirstlane_b32 s17, v1
	s_subb_u32 s15, 0, s15
	s_delay_alu instid0(SALU_CYCLE_1) | instskip(SKIP_1) | instid1(VALU_DEP_1)
	s_cmp_ge_u32 s15, s11
	s_cselect_b32 s20, -1, 0
	s_cmp_ge_u32 s17, s10
	s_cselect_b32 s10, -1, 0
	s_cmp_eq_u32 s15, s11
	s_cselect_b32 s10, s10, s20
	s_delay_alu instid0(SALU_CYCLE_1) | instskip(SKIP_2) | instid1(SALU_CYCLE_1)
	s_cmp_lg_u32 s10, 0
	s_cselect_b32 s11, s19, s7
	s_cselect_b32 s10, s16, s3
	s_xor_b64 s[10:11], s[10:11], s[8:9]
	s_delay_alu instid0(SALU_CYCLE_1)
	s_sub_u32 s16, s10, s8
	s_subb_u32 s17, s11, s8
	s_and_not1_b32 vcc_lo, exec_lo, s6
	s_lshr_b32 s3, s18, 16
	s_cbranch_vccnz .LBB35_3
.LBB35_2:
	v_cvt_f32_u32_e32 v1, s2
	s_sub_i32 s7, 0, s2
	s_mov_b32 s17, 0
	s_delay_alu instid0(VALU_DEP_1) | instskip(SKIP_2) | instid1(VALU_DEP_1)
	v_rcp_iflag_f32_e32 v1, v1
	s_waitcnt_depctr 0xfff
	v_mul_f32_e32 v1, 0x4f7ffffe, v1
	v_cvt_u32_f32_e32 v1, v1
	s_delay_alu instid0(VALU_DEP_1) | instskip(NEXT) | instid1(VALU_DEP_1)
	v_readfirstlane_b32 s6, v1
	s_mul_i32 s7, s7, s6
	s_delay_alu instid0(SALU_CYCLE_1) | instskip(NEXT) | instid1(SALU_CYCLE_1)
	s_mul_hi_u32 s7, s6, s7
	s_add_i32 s6, s6, s7
	s_delay_alu instid0(SALU_CYCLE_1) | instskip(NEXT) | instid1(SALU_CYCLE_1)
	s_mul_hi_u32 s6, s12, s6
	s_mul_i32 s7, s6, s2
	s_add_i32 s8, s6, 1
	s_sub_i32 s7, s12, s7
	s_delay_alu instid0(SALU_CYCLE_1)
	s_sub_i32 s9, s7, s2
	s_cmp_ge_u32 s7, s2
	s_cselect_b32 s6, s8, s6
	s_cselect_b32 s7, s9, s7
	s_add_i32 s8, s6, 1
	s_cmp_ge_u32 s7, s2
	s_cselect_b32 s16, s8, s6
.LBB35_3:
	s_load_b64 s[6:7], s[0:1], 0x80
	v_bfe_u32 v3, v0, 10, 10
	s_and_b32 s3, 0xffff, s3
	s_delay_alu instid0(VALU_DEP_1) | instid1(SALU_CYCLE_1)
	v_mad_u64_u32 v[1:2], null, s14, s3, v[3:4]
	s_mov_b32 s3, exec_lo
	s_delay_alu instid0(VALU_DEP_1) | instskip(SKIP_1) | instid1(VALU_DEP_1)
	v_ashrrev_i32_e32 v2, 31, v1
	s_waitcnt lgkmcnt(0)
	v_cmpx_gt_i64_e64 s[6:7], v[1:2]
	s_cbranch_execz .LBB35_6
; %bb.4:
	s_load_b32 s3, s[4:5], 0xc
	s_load_b64 s[4:5], s[0:1], 0x88
	v_and_b32_e32 v0, 0x3ff, v0
	s_waitcnt lgkmcnt(0)
	s_and_b32 s3, s3, 0xffff
	s_delay_alu instid0(VALU_DEP_1) | instid1(SALU_CYCLE_1)
	v_mad_u64_u32 v[3:4], null, s13, s3, v[0:1]
	s_delay_alu instid0(VALU_DEP_1) | instskip(NEXT) | instid1(VALU_DEP_1)
	v_ashrrev_i32_e32 v4, 31, v3
	v_cmp_gt_i64_e32 vcc_lo, s[4:5], v[3:4]
	s_and_b32 exec_lo, exec_lo, vcc_lo
	s_cbranch_execz .LBB35_6
; %bb.5:
	s_clause 0x1
	s_load_b256 s[4:11], s[0:1], 0x48
	s_load_b64 s[14:15], s[0:1], 0x20
	s_mul_i32 s13, s16, s2
	s_bfe_i64 s[2:3], s[16:17], 0x200000
	s_sub_i32 s12, s12, s13
	s_waitcnt lgkmcnt(0)
	s_mul_i32 s2, s4, s3
	s_mul_hi_u32 s13, s4, s16
	s_mul_i32 s5, s5, s16
	v_mul_lo_u32 v0, s9, v1
	v_mul_lo_u32 v9, s8, v2
	v_mad_u64_u32 v[5:6], null, s8, v1, 0
	s_add_i32 s2, s13, s2
	s_mul_i32 s4, s4, s16
	s_add_i32 s5, s2, s5
	v_mul_lo_u32 v10, s11, v3
	s_lshl_b64 s[4:5], s[4:5], 3
	v_mul_lo_u32 v11, s10, v4
	v_mad_u64_u32 v[7:8], null, s10, v3, 0
	s_mul_i32 s2, s7, s12
	s_add_u32 s7, s14, s4
	s_addc_u32 s8, s15, s5
	s_ashr_i32 s13, s12, 31
	v_add3_u32 v6, v6, v9, v0
	s_mul_hi_u32 s17, s6, s12
	s_mul_i32 s4, s6, s13
	v_add3_u32 v8, v8, v11, v10
	s_add_i32 s5, s17, s4
	s_mul_i32 s4, s6, s12
	s_add_i32 s5, s5, s2
	v_lshlrev_b64 v[5:6], 3, v[5:6]
	s_lshl_b64 s[4:5], s[4:5], 3
	v_lshlrev_b64 v[7:8], 3, v[7:8]
	s_add_u32 s2, s7, s4
	s_addc_u32 s4, s8, s5
	s_delay_alu instid0(VALU_DEP_2) | instskip(SKIP_2) | instid1(VALU_DEP_2)
	v_add_co_u32 v0, vcc_lo, s2, v5
	v_add_co_ci_u32_e32 v6, vcc_lo, s4, v6, vcc_lo
	s_load_b256 s[4:11], s[0:1], 0x0
	v_add_co_u32 v5, vcc_lo, v0, v7
	s_delay_alu instid0(VALU_DEP_2)
	v_add_co_ci_u32_e32 v6, vcc_lo, v6, v8, vcc_lo
	global_load_b64 v[5:6], v[5:6], off
	s_waitcnt lgkmcnt(0)
	s_mul_i32 s2, s8, s7
	s_mul_hi_u32 s7, s8, s6
	s_mul_i32 s8, s8, s6
	s_mul_i32 s6, s9, s6
	s_add_i32 s2, s7, s2
	s_mul_i32 s9, s8, s11
	s_mul_hi_u32 s11, s8, s10
	s_add_i32 s2, s2, s6
	s_mul_i32 s8, s8, s10
	s_add_i32 s6, s11, s9
	s_mul_i32 s2, s2, s10
	s_mul_i32 s7, s8, s3
	s_mul_hi_u32 s9, s8, s16
	s_add_i32 s2, s6, s2
	s_add_i32 s7, s9, s7
	s_mul_i32 s2, s2, s16
	s_mul_i32 s6, s8, s16
	s_add_i32 s7, s7, s2
	s_delay_alu instid0(SALU_CYCLE_1) | instskip(NEXT) | instid1(SALU_CYCLE_1)
	s_lshl_b64 s[6:7], s[6:7], 1
	s_add_u32 s2, s4, s6
	s_addc_u32 s4, s5, s7
	s_waitcnt vmcnt(0)
	v_lshlrev_b64 v[5:6], 1, v[5:6]
	s_delay_alu instid0(VALU_DEP_1) | instskip(NEXT) | instid1(VALU_DEP_2)
	v_add_co_u32 v5, vcc_lo, s2, v5
	v_add_co_ci_u32_e32 v6, vcc_lo, s4, v6, vcc_lo
	global_load_u16 v7, v[5:6], off
	s_clause 0x1
	s_load_b256 s[4:11], s[0:1], 0x90
	s_load_b64 s[0:1], s[0:1], 0x68
	s_waitcnt lgkmcnt(0)
	v_mul_lo_u32 v8, s9, v1
	v_mul_lo_u32 v2, s8, v2
	v_mad_u64_u32 v[5:6], null, s8, v1, 0
	s_mul_i32 s2, s4, s3
	s_mul_hi_u32 s3, s4, s16
	v_mul_lo_u32 v9, s11, v3
	s_add_i32 s2, s3, s2
	s_mul_i32 s3, s5, s16
	v_mul_lo_u32 v4, s10, v4
	s_add_i32 s3, s2, s3
	s_mul_i32 s2, s4, s16
	v_mad_u64_u32 v[0:1], null, s10, v3, 0
	s_lshl_b64 s[2:3], s[2:3], 1
	v_add3_u32 v6, v6, v2, v8
	s_add_u32 s2, s0, s2
	s_mul_i32 s0, s6, s13
	s_mul_hi_u32 s4, s6, s12
	s_addc_u32 s3, s1, s3
	s_add_i32 s0, s4, s0
	s_mul_i32 s1, s7, s12
	v_add3_u32 v1, v1, v4, v9
	s_add_i32 s1, s0, s1
	s_mul_i32 s0, s6, s12
	v_lshlrev_b64 v[2:3], 1, v[5:6]
	s_lshl_b64 s[0:1], s[0:1], 1
	v_lshlrev_b64 v[0:1], 1, v[0:1]
	s_add_u32 s0, s2, s0
	s_addc_u32 s1, s3, s1
	s_delay_alu instid0(VALU_DEP_2) | instskip(SKIP_1) | instid1(VALU_DEP_2)
	v_add_co_u32 v2, vcc_lo, s0, v2
	v_add_co_ci_u32_e32 v3, vcc_lo, s1, v3, vcc_lo
	v_add_co_u32 v0, vcc_lo, v2, v0
	s_delay_alu instid0(VALU_DEP_2)
	v_add_co_ci_u32_e32 v1, vcc_lo, v3, v1, vcc_lo
	s_waitcnt vmcnt(0)
	global_store_b16 v[0:1], v7, off
.LBB35_6:
	s_nop 0
	s_sendmsg sendmsg(MSG_DEALLOC_VGPRS)
	s_endpgm
.LBB35_7:
                                        ; implicit-def: $sgpr16_sgpr17
	s_lshr_b32 s3, s18, 16
	s_branch .LBB35_2
	.section	.rodata,"a",@progbits
	.p2align	6, 0x0
	.amdhsa_kernel _ZN2at6native31max_unpooling3d_backward_kernelIN3c108BFloat16EEEvPKT_lllN5torch10headeronly6detail27GenericPackedTensorAccessorINS9_14TensorAccessorINS2_8ArrayRefIlEElLm3ENS8_16DefaultPtrTraitsElEENS_6detail16IndexBoundsCheckILm4ElEElLm4ESE_lEENSA_INSB_ISD_S4_Lm3ESE_lEESI_S4_Lm4ESE_lEEi
		.amdhsa_group_segment_fixed_size 0
		.amdhsa_private_segment_fixed_size 0
		.amdhsa_kernarg_size 440
		.amdhsa_user_sgpr_count 13
		.amdhsa_user_sgpr_dispatch_ptr 0
		.amdhsa_user_sgpr_queue_ptr 0
		.amdhsa_user_sgpr_kernarg_segment_ptr 1
		.amdhsa_user_sgpr_dispatch_id 0
		.amdhsa_user_sgpr_private_segment_size 0
		.amdhsa_wavefront_size32 1
		.amdhsa_uses_dynamic_stack 0
		.amdhsa_enable_private_segment 0
		.amdhsa_system_sgpr_workgroup_id_x 1
		.amdhsa_system_sgpr_workgroup_id_y 1
		.amdhsa_system_sgpr_workgroup_id_z 1
		.amdhsa_system_sgpr_workgroup_info 0
		.amdhsa_system_vgpr_workitem_id 1
		.amdhsa_next_free_vgpr 12
		.amdhsa_next_free_sgpr 24
		.amdhsa_reserve_vcc 1
		.amdhsa_float_round_mode_32 0
		.amdhsa_float_round_mode_16_64 0
		.amdhsa_float_denorm_mode_32 3
		.amdhsa_float_denorm_mode_16_64 3
		.amdhsa_dx10_clamp 1
		.amdhsa_ieee_mode 1
		.amdhsa_fp16_overflow 0
		.amdhsa_workgroup_processor_mode 1
		.amdhsa_memory_ordered 1
		.amdhsa_forward_progress 0
		.amdhsa_shared_vgpr_count 0
		.amdhsa_exception_fp_ieee_invalid_op 0
		.amdhsa_exception_fp_denorm_src 0
		.amdhsa_exception_fp_ieee_div_zero 0
		.amdhsa_exception_fp_ieee_overflow 0
		.amdhsa_exception_fp_ieee_underflow 0
		.amdhsa_exception_fp_ieee_inexact 0
		.amdhsa_exception_int_div_zero 0
	.end_amdhsa_kernel
	.section	.text._ZN2at6native31max_unpooling3d_backward_kernelIN3c108BFloat16EEEvPKT_lllN5torch10headeronly6detail27GenericPackedTensorAccessorINS9_14TensorAccessorINS2_8ArrayRefIlEElLm3ENS8_16DefaultPtrTraitsElEENS_6detail16IndexBoundsCheckILm4ElEElLm4ESE_lEENSA_INSB_ISD_S4_Lm3ESE_lEESI_S4_Lm4ESE_lEEi,"axG",@progbits,_ZN2at6native31max_unpooling3d_backward_kernelIN3c108BFloat16EEEvPKT_lllN5torch10headeronly6detail27GenericPackedTensorAccessorINS9_14TensorAccessorINS2_8ArrayRefIlEElLm3ENS8_16DefaultPtrTraitsElEENS_6detail16IndexBoundsCheckILm4ElEElLm4ESE_lEENSA_INSB_ISD_S4_Lm3ESE_lEESI_S4_Lm4ESE_lEEi,comdat
.Lfunc_end35:
	.size	_ZN2at6native31max_unpooling3d_backward_kernelIN3c108BFloat16EEEvPKT_lllN5torch10headeronly6detail27GenericPackedTensorAccessorINS9_14TensorAccessorINS2_8ArrayRefIlEElLm3ENS8_16DefaultPtrTraitsElEENS_6detail16IndexBoundsCheckILm4ElEElLm4ESE_lEENSA_INSB_ISD_S4_Lm3ESE_lEESI_S4_Lm4ESE_lEEi, .Lfunc_end35-_ZN2at6native31max_unpooling3d_backward_kernelIN3c108BFloat16EEEvPKT_lllN5torch10headeronly6detail27GenericPackedTensorAccessorINS9_14TensorAccessorINS2_8ArrayRefIlEElLm3ENS8_16DefaultPtrTraitsElEENS_6detail16IndexBoundsCheckILm4ElEElLm4ESE_lEENSA_INSB_ISD_S4_Lm3ESE_lEESI_S4_Lm4ESE_lEEi
                                        ; -- End function
	.section	.AMDGPU.csdata,"",@progbits
; Kernel info:
; codeLenInByte = 1508
; NumSgprs: 26
; NumVgprs: 12
; ScratchSize: 0
; MemoryBound: 0
; FloatMode: 240
; IeeeMode: 1
; LDSByteSize: 0 bytes/workgroup (compile time only)
; SGPRBlocks: 3
; VGPRBlocks: 1
; NumSGPRsForWavesPerEU: 26
; NumVGPRsForWavesPerEU: 12
; Occupancy: 16
; WaveLimiterHint : 1
; COMPUTE_PGM_RSRC2:SCRATCH_EN: 0
; COMPUTE_PGM_RSRC2:USER_SGPR: 13
; COMPUTE_PGM_RSRC2:TRAP_HANDLER: 0
; COMPUTE_PGM_RSRC2:TGID_X_EN: 1
; COMPUTE_PGM_RSRC2:TGID_Y_EN: 1
; COMPUTE_PGM_RSRC2:TGID_Z_EN: 1
; COMPUTE_PGM_RSRC2:TIDIG_COMP_CNT: 1
	.text
	.p2alignl 7, 3214868480
	.fill 96, 4, 3214868480
	.type	__hip_cuid_c65958111bf5c79,@object ; @__hip_cuid_c65958111bf5c79
	.section	.bss,"aw",@nobits
	.globl	__hip_cuid_c65958111bf5c79
__hip_cuid_c65958111bf5c79:
	.byte	0                               ; 0x0
	.size	__hip_cuid_c65958111bf5c79, 1

	.ident	"AMD clang version 19.0.0git (https://github.com/RadeonOpenCompute/llvm-project roc-6.4.0 25133 c7fe45cf4b819c5991fe208aaa96edf142730f1d)"
	.section	".note.GNU-stack","",@progbits
	.addrsig
	.addrsig_sym __hip_cuid_c65958111bf5c79
	.amdgpu_metadata
---
amdhsa.kernels:
  - .args:
      - .offset:         0
        .size:           8
        .value_kind:     by_value
      - .address_space:  global
        .offset:         8
        .size:           8
        .value_kind:     global_buffer
      - .address_space:  global
        .offset:         16
        .size:           8
        .value_kind:     global_buffer
      - .offset:         24
        .size:           8
        .value_kind:     by_value
      - .offset:         32
        .size:           8
        .value_kind:     by_value
      - .offset:         40
        .size:           8
        .value_kind:     by_value
      - .offset:         48
        .size:           8
        .value_kind:     by_value
      - .offset:         56
        .size:           8
        .value_kind:     by_value
      - .address_space:  global
        .offset:         64
        .size:           8
        .value_kind:     global_buffer
      - .offset:         72
        .size:           4
        .value_kind:     hidden_block_count_x
      - .offset:         76
        .size:           4
        .value_kind:     hidden_block_count_y
      - .offset:         80
        .size:           4
        .value_kind:     hidden_block_count_z
      - .offset:         84
        .size:           2
        .value_kind:     hidden_group_size_x
      - .offset:         86
        .size:           2
        .value_kind:     hidden_group_size_y
      - .offset:         88
        .size:           2
        .value_kind:     hidden_group_size_z
      - .offset:         90
        .size:           2
        .value_kind:     hidden_remainder_x
      - .offset:         92
        .size:           2
        .value_kind:     hidden_remainder_y
      - .offset:         94
        .size:           2
        .value_kind:     hidden_remainder_z
      - .offset:         112
        .size:           8
        .value_kind:     hidden_global_offset_x
      - .offset:         120
        .size:           8
        .value_kind:     hidden_global_offset_y
      - .offset:         128
        .size:           8
        .value_kind:     hidden_global_offset_z
      - .offset:         136
        .size:           2
        .value_kind:     hidden_grid_dims
    .group_segment_fixed_size: 0
    .kernarg_segment_align: 8
    .kernarg_segment_size: 328
    .language:       OpenCL C
    .language_version:
      - 2
      - 0
    .max_flat_workgroup_size: 1024
    .name:           _ZN2at6native30max_unpooling2d_forward_kernelIhEEvlPKT_PKllllllPS2_
    .private_segment_fixed_size: 0
    .sgpr_count:     34
    .sgpr_spill_count: 0
    .symbol:         _ZN2at6native30max_unpooling2d_forward_kernelIhEEvlPKT_PKllllllPS2_.kd
    .uniform_work_group_size: 1
    .uses_dynamic_stack: false
    .vgpr_count:     25
    .vgpr_spill_count: 0
    .wavefront_size: 32
    .workgroup_processor_mode: 1
  - .args:
      - .offset:         0
        .size:           8
        .value_kind:     by_value
      - .address_space:  global
        .offset:         8
        .size:           8
        .value_kind:     global_buffer
      - .address_space:  global
        .offset:         16
        .size:           8
        .value_kind:     global_buffer
      - .offset:         24
        .size:           8
        .value_kind:     by_value
      - .offset:         32
        .size:           8
        .value_kind:     by_value
      - .offset:         40
        .size:           8
        .value_kind:     by_value
      - .offset:         48
        .size:           8
        .value_kind:     by_value
      - .offset:         56
        .size:           8
        .value_kind:     by_value
      - .address_space:  global
        .offset:         64
        .size:           8
        .value_kind:     global_buffer
      - .offset:         72
        .size:           4
        .value_kind:     hidden_block_count_x
      - .offset:         76
        .size:           4
        .value_kind:     hidden_block_count_y
      - .offset:         80
        .size:           4
        .value_kind:     hidden_block_count_z
      - .offset:         84
        .size:           2
        .value_kind:     hidden_group_size_x
      - .offset:         86
        .size:           2
        .value_kind:     hidden_group_size_y
      - .offset:         88
        .size:           2
        .value_kind:     hidden_group_size_z
      - .offset:         90
        .size:           2
        .value_kind:     hidden_remainder_x
      - .offset:         92
        .size:           2
        .value_kind:     hidden_remainder_y
      - .offset:         94
        .size:           2
        .value_kind:     hidden_remainder_z
      - .offset:         112
        .size:           8
        .value_kind:     hidden_global_offset_x
      - .offset:         120
        .size:           8
        .value_kind:     hidden_global_offset_y
      - .offset:         128
        .size:           8
        .value_kind:     hidden_global_offset_z
      - .offset:         136
        .size:           2
        .value_kind:     hidden_grid_dims
    .group_segment_fixed_size: 0
    .kernarg_segment_align: 8
    .kernarg_segment_size: 328
    .language:       OpenCL C
    .language_version:
      - 2
      - 0
    .max_flat_workgroup_size: 1024
    .name:           _ZN2at6native30max_unpooling2d_forward_kernelIaEEvlPKT_PKllllllPS2_
    .private_segment_fixed_size: 0
    .sgpr_count:     34
    .sgpr_spill_count: 0
    .symbol:         _ZN2at6native30max_unpooling2d_forward_kernelIaEEvlPKT_PKllllllPS2_.kd
    .uniform_work_group_size: 1
    .uses_dynamic_stack: false
    .vgpr_count:     25
    .vgpr_spill_count: 0
    .wavefront_size: 32
    .workgroup_processor_mode: 1
  - .args:
      - .offset:         0
        .size:           8
        .value_kind:     by_value
      - .address_space:  global
        .offset:         8
        .size:           8
        .value_kind:     global_buffer
      - .address_space:  global
        .offset:         16
        .size:           8
        .value_kind:     global_buffer
      - .offset:         24
        .size:           8
        .value_kind:     by_value
      - .offset:         32
        .size:           8
        .value_kind:     by_value
      - .offset:         40
        .size:           8
        .value_kind:     by_value
      - .offset:         48
        .size:           8
        .value_kind:     by_value
      - .offset:         56
        .size:           8
        .value_kind:     by_value
      - .address_space:  global
        .offset:         64
        .size:           8
        .value_kind:     global_buffer
      - .offset:         72
        .size:           4
        .value_kind:     hidden_block_count_x
      - .offset:         76
        .size:           4
        .value_kind:     hidden_block_count_y
      - .offset:         80
        .size:           4
        .value_kind:     hidden_block_count_z
      - .offset:         84
        .size:           2
        .value_kind:     hidden_group_size_x
      - .offset:         86
        .size:           2
        .value_kind:     hidden_group_size_y
      - .offset:         88
        .size:           2
        .value_kind:     hidden_group_size_z
      - .offset:         90
        .size:           2
        .value_kind:     hidden_remainder_x
      - .offset:         92
        .size:           2
        .value_kind:     hidden_remainder_y
      - .offset:         94
        .size:           2
        .value_kind:     hidden_remainder_z
      - .offset:         112
        .size:           8
        .value_kind:     hidden_global_offset_x
      - .offset:         120
        .size:           8
        .value_kind:     hidden_global_offset_y
      - .offset:         128
        .size:           8
        .value_kind:     hidden_global_offset_z
      - .offset:         136
        .size:           2
        .value_kind:     hidden_grid_dims
    .group_segment_fixed_size: 0
    .kernarg_segment_align: 8
    .kernarg_segment_size: 328
    .language:       OpenCL C
    .language_version:
      - 2
      - 0
    .max_flat_workgroup_size: 1024
    .name:           _ZN2at6native30max_unpooling2d_forward_kernelIiEEvlPKT_PKllllllPS2_
    .private_segment_fixed_size: 0
    .sgpr_count:     34
    .sgpr_spill_count: 0
    .symbol:         _ZN2at6native30max_unpooling2d_forward_kernelIiEEvlPKT_PKllllllPS2_.kd
    .uniform_work_group_size: 1
    .uses_dynamic_stack: false
    .vgpr_count:     25
    .vgpr_spill_count: 0
    .wavefront_size: 32
    .workgroup_processor_mode: 1
  - .args:
      - .offset:         0
        .size:           8
        .value_kind:     by_value
      - .address_space:  global
        .offset:         8
        .size:           8
        .value_kind:     global_buffer
      - .address_space:  global
        .offset:         16
        .size:           8
        .value_kind:     global_buffer
      - .offset:         24
        .size:           8
        .value_kind:     by_value
      - .offset:         32
        .size:           8
        .value_kind:     by_value
      - .offset:         40
        .size:           8
        .value_kind:     by_value
      - .offset:         48
        .size:           8
        .value_kind:     by_value
      - .offset:         56
        .size:           8
        .value_kind:     by_value
      - .address_space:  global
        .offset:         64
        .size:           8
        .value_kind:     global_buffer
      - .offset:         72
        .size:           4
        .value_kind:     hidden_block_count_x
      - .offset:         76
        .size:           4
        .value_kind:     hidden_block_count_y
      - .offset:         80
        .size:           4
        .value_kind:     hidden_block_count_z
      - .offset:         84
        .size:           2
        .value_kind:     hidden_group_size_x
      - .offset:         86
        .size:           2
        .value_kind:     hidden_group_size_y
      - .offset:         88
        .size:           2
        .value_kind:     hidden_group_size_z
      - .offset:         90
        .size:           2
        .value_kind:     hidden_remainder_x
      - .offset:         92
        .size:           2
        .value_kind:     hidden_remainder_y
      - .offset:         94
        .size:           2
        .value_kind:     hidden_remainder_z
      - .offset:         112
        .size:           8
        .value_kind:     hidden_global_offset_x
      - .offset:         120
        .size:           8
        .value_kind:     hidden_global_offset_y
      - .offset:         128
        .size:           8
        .value_kind:     hidden_global_offset_z
      - .offset:         136
        .size:           2
        .value_kind:     hidden_grid_dims
    .group_segment_fixed_size: 0
    .kernarg_segment_align: 8
    .kernarg_segment_size: 328
    .language:       OpenCL C
    .language_version:
      - 2
      - 0
    .max_flat_workgroup_size: 1024
    .name:           _ZN2at6native30max_unpooling2d_forward_kernelIlEEvlPKT_PKllllllPS2_
    .private_segment_fixed_size: 0
    .sgpr_count:     34
    .sgpr_spill_count: 0
    .symbol:         _ZN2at6native30max_unpooling2d_forward_kernelIlEEvlPKT_PKllllllPS2_.kd
    .uniform_work_group_size: 1
    .uses_dynamic_stack: false
    .vgpr_count:     25
    .vgpr_spill_count: 0
    .wavefront_size: 32
    .workgroup_processor_mode: 1
  - .args:
      - .offset:         0
        .size:           8
        .value_kind:     by_value
      - .address_space:  global
        .offset:         8
        .size:           8
        .value_kind:     global_buffer
      - .address_space:  global
        .offset:         16
        .size:           8
        .value_kind:     global_buffer
      - .offset:         24
        .size:           8
        .value_kind:     by_value
      - .offset:         32
        .size:           8
        .value_kind:     by_value
      - .offset:         40
        .size:           8
        .value_kind:     by_value
      - .offset:         48
        .size:           8
        .value_kind:     by_value
      - .offset:         56
        .size:           8
        .value_kind:     by_value
      - .address_space:  global
        .offset:         64
        .size:           8
        .value_kind:     global_buffer
      - .offset:         72
        .size:           4
        .value_kind:     hidden_block_count_x
      - .offset:         76
        .size:           4
        .value_kind:     hidden_block_count_y
      - .offset:         80
        .size:           4
        .value_kind:     hidden_block_count_z
      - .offset:         84
        .size:           2
        .value_kind:     hidden_group_size_x
      - .offset:         86
        .size:           2
        .value_kind:     hidden_group_size_y
      - .offset:         88
        .size:           2
        .value_kind:     hidden_group_size_z
      - .offset:         90
        .size:           2
        .value_kind:     hidden_remainder_x
      - .offset:         92
        .size:           2
        .value_kind:     hidden_remainder_y
      - .offset:         94
        .size:           2
        .value_kind:     hidden_remainder_z
      - .offset:         112
        .size:           8
        .value_kind:     hidden_global_offset_x
      - .offset:         120
        .size:           8
        .value_kind:     hidden_global_offset_y
      - .offset:         128
        .size:           8
        .value_kind:     hidden_global_offset_z
      - .offset:         136
        .size:           2
        .value_kind:     hidden_grid_dims
    .group_segment_fixed_size: 0
    .kernarg_segment_align: 8
    .kernarg_segment_size: 328
    .language:       OpenCL C
    .language_version:
      - 2
      - 0
    .max_flat_workgroup_size: 1024
    .name:           _ZN2at6native30max_unpooling2d_forward_kernelIsEEvlPKT_PKllllllPS2_
    .private_segment_fixed_size: 0
    .sgpr_count:     34
    .sgpr_spill_count: 0
    .symbol:         _ZN2at6native30max_unpooling2d_forward_kernelIsEEvlPKT_PKllllllPS2_.kd
    .uniform_work_group_size: 1
    .uses_dynamic_stack: false
    .vgpr_count:     25
    .vgpr_spill_count: 0
    .wavefront_size: 32
    .workgroup_processor_mode: 1
  - .args:
      - .offset:         0
        .size:           8
        .value_kind:     by_value
      - .address_space:  global
        .offset:         8
        .size:           8
        .value_kind:     global_buffer
      - .address_space:  global
        .offset:         16
        .size:           8
        .value_kind:     global_buffer
      - .offset:         24
        .size:           8
        .value_kind:     by_value
      - .offset:         32
        .size:           8
        .value_kind:     by_value
      - .offset:         40
        .size:           8
        .value_kind:     by_value
      - .offset:         48
        .size:           8
        .value_kind:     by_value
      - .offset:         56
        .size:           8
        .value_kind:     by_value
      - .address_space:  global
        .offset:         64
        .size:           8
        .value_kind:     global_buffer
      - .offset:         72
        .size:           4
        .value_kind:     hidden_block_count_x
      - .offset:         76
        .size:           4
        .value_kind:     hidden_block_count_y
      - .offset:         80
        .size:           4
        .value_kind:     hidden_block_count_z
      - .offset:         84
        .size:           2
        .value_kind:     hidden_group_size_x
      - .offset:         86
        .size:           2
        .value_kind:     hidden_group_size_y
      - .offset:         88
        .size:           2
        .value_kind:     hidden_group_size_z
      - .offset:         90
        .size:           2
        .value_kind:     hidden_remainder_x
      - .offset:         92
        .size:           2
        .value_kind:     hidden_remainder_y
      - .offset:         94
        .size:           2
        .value_kind:     hidden_remainder_z
      - .offset:         112
        .size:           8
        .value_kind:     hidden_global_offset_x
      - .offset:         120
        .size:           8
        .value_kind:     hidden_global_offset_y
      - .offset:         128
        .size:           8
        .value_kind:     hidden_global_offset_z
      - .offset:         136
        .size:           2
        .value_kind:     hidden_grid_dims
    .group_segment_fixed_size: 0
    .kernarg_segment_align: 8
    .kernarg_segment_size: 328
    .language:       OpenCL C
    .language_version:
      - 2
      - 0
    .max_flat_workgroup_size: 1024
    .name:           _ZN2at6native30max_unpooling2d_forward_kernelIdEEvlPKT_PKllllllPS2_
    .private_segment_fixed_size: 0
    .sgpr_count:     34
    .sgpr_spill_count: 0
    .symbol:         _ZN2at6native30max_unpooling2d_forward_kernelIdEEvlPKT_PKllllllPS2_.kd
    .uniform_work_group_size: 1
    .uses_dynamic_stack: false
    .vgpr_count:     25
    .vgpr_spill_count: 0
    .wavefront_size: 32
    .workgroup_processor_mode: 1
  - .args:
      - .offset:         0
        .size:           8
        .value_kind:     by_value
      - .address_space:  global
        .offset:         8
        .size:           8
        .value_kind:     global_buffer
      - .address_space:  global
        .offset:         16
        .size:           8
        .value_kind:     global_buffer
      - .offset:         24
        .size:           8
        .value_kind:     by_value
      - .offset:         32
        .size:           8
        .value_kind:     by_value
      - .offset:         40
        .size:           8
        .value_kind:     by_value
      - .offset:         48
        .size:           8
        .value_kind:     by_value
      - .offset:         56
        .size:           8
        .value_kind:     by_value
      - .address_space:  global
        .offset:         64
        .size:           8
        .value_kind:     global_buffer
      - .offset:         72
        .size:           4
        .value_kind:     hidden_block_count_x
      - .offset:         76
        .size:           4
        .value_kind:     hidden_block_count_y
      - .offset:         80
        .size:           4
        .value_kind:     hidden_block_count_z
      - .offset:         84
        .size:           2
        .value_kind:     hidden_group_size_x
      - .offset:         86
        .size:           2
        .value_kind:     hidden_group_size_y
      - .offset:         88
        .size:           2
        .value_kind:     hidden_group_size_z
      - .offset:         90
        .size:           2
        .value_kind:     hidden_remainder_x
      - .offset:         92
        .size:           2
        .value_kind:     hidden_remainder_y
      - .offset:         94
        .size:           2
        .value_kind:     hidden_remainder_z
      - .offset:         112
        .size:           8
        .value_kind:     hidden_global_offset_x
      - .offset:         120
        .size:           8
        .value_kind:     hidden_global_offset_y
      - .offset:         128
        .size:           8
        .value_kind:     hidden_global_offset_z
      - .offset:         136
        .size:           2
        .value_kind:     hidden_grid_dims
    .group_segment_fixed_size: 0
    .kernarg_segment_align: 8
    .kernarg_segment_size: 328
    .language:       OpenCL C
    .language_version:
      - 2
      - 0
    .max_flat_workgroup_size: 1024
    .name:           _ZN2at6native30max_unpooling2d_forward_kernelIfEEvlPKT_PKllllllPS2_
    .private_segment_fixed_size: 0
    .sgpr_count:     34
    .sgpr_spill_count: 0
    .symbol:         _ZN2at6native30max_unpooling2d_forward_kernelIfEEvlPKT_PKllllllPS2_.kd
    .uniform_work_group_size: 1
    .uses_dynamic_stack: false
    .vgpr_count:     25
    .vgpr_spill_count: 0
    .wavefront_size: 32
    .workgroup_processor_mode: 1
  - .args:
      - .offset:         0
        .size:           8
        .value_kind:     by_value
      - .address_space:  global
        .offset:         8
        .size:           8
        .value_kind:     global_buffer
      - .address_space:  global
        .offset:         16
        .size:           8
        .value_kind:     global_buffer
      - .offset:         24
        .size:           8
        .value_kind:     by_value
      - .offset:         32
        .size:           8
        .value_kind:     by_value
      - .offset:         40
        .size:           8
        .value_kind:     by_value
      - .offset:         48
        .size:           8
        .value_kind:     by_value
      - .offset:         56
        .size:           8
        .value_kind:     by_value
      - .address_space:  global
        .offset:         64
        .size:           8
        .value_kind:     global_buffer
      - .offset:         72
        .size:           4
        .value_kind:     hidden_block_count_x
      - .offset:         76
        .size:           4
        .value_kind:     hidden_block_count_y
      - .offset:         80
        .size:           4
        .value_kind:     hidden_block_count_z
      - .offset:         84
        .size:           2
        .value_kind:     hidden_group_size_x
      - .offset:         86
        .size:           2
        .value_kind:     hidden_group_size_y
      - .offset:         88
        .size:           2
        .value_kind:     hidden_group_size_z
      - .offset:         90
        .size:           2
        .value_kind:     hidden_remainder_x
      - .offset:         92
        .size:           2
        .value_kind:     hidden_remainder_y
      - .offset:         94
        .size:           2
        .value_kind:     hidden_remainder_z
      - .offset:         112
        .size:           8
        .value_kind:     hidden_global_offset_x
      - .offset:         120
        .size:           8
        .value_kind:     hidden_global_offset_y
      - .offset:         128
        .size:           8
        .value_kind:     hidden_global_offset_z
      - .offset:         136
        .size:           2
        .value_kind:     hidden_grid_dims
    .group_segment_fixed_size: 0
    .kernarg_segment_align: 8
    .kernarg_segment_size: 328
    .language:       OpenCL C
    .language_version:
      - 2
      - 0
    .max_flat_workgroup_size: 1024
    .name:           _ZN2at6native30max_unpooling2d_forward_kernelIN3c104HalfEEEvlPKT_PKllllllPS4_
    .private_segment_fixed_size: 0
    .sgpr_count:     34
    .sgpr_spill_count: 0
    .symbol:         _ZN2at6native30max_unpooling2d_forward_kernelIN3c104HalfEEEvlPKT_PKllllllPS4_.kd
    .uniform_work_group_size: 1
    .uses_dynamic_stack: false
    .vgpr_count:     25
    .vgpr_spill_count: 0
    .wavefront_size: 32
    .workgroup_processor_mode: 1
  - .args:
      - .offset:         0
        .size:           8
        .value_kind:     by_value
      - .address_space:  global
        .offset:         8
        .size:           8
        .value_kind:     global_buffer
      - .address_space:  global
        .offset:         16
        .size:           8
        .value_kind:     global_buffer
      - .offset:         24
        .size:           8
        .value_kind:     by_value
      - .offset:         32
        .size:           8
        .value_kind:     by_value
      - .offset:         40
        .size:           8
        .value_kind:     by_value
      - .offset:         48
        .size:           8
        .value_kind:     by_value
      - .offset:         56
        .size:           8
        .value_kind:     by_value
      - .address_space:  global
        .offset:         64
        .size:           8
        .value_kind:     global_buffer
      - .offset:         72
        .size:           4
        .value_kind:     hidden_block_count_x
      - .offset:         76
        .size:           4
        .value_kind:     hidden_block_count_y
      - .offset:         80
        .size:           4
        .value_kind:     hidden_block_count_z
      - .offset:         84
        .size:           2
        .value_kind:     hidden_group_size_x
      - .offset:         86
        .size:           2
        .value_kind:     hidden_group_size_y
      - .offset:         88
        .size:           2
        .value_kind:     hidden_group_size_z
      - .offset:         90
        .size:           2
        .value_kind:     hidden_remainder_x
      - .offset:         92
        .size:           2
        .value_kind:     hidden_remainder_y
      - .offset:         94
        .size:           2
        .value_kind:     hidden_remainder_z
      - .offset:         112
        .size:           8
        .value_kind:     hidden_global_offset_x
      - .offset:         120
        .size:           8
        .value_kind:     hidden_global_offset_y
      - .offset:         128
        .size:           8
        .value_kind:     hidden_global_offset_z
      - .offset:         136
        .size:           2
        .value_kind:     hidden_grid_dims
    .group_segment_fixed_size: 0
    .kernarg_segment_align: 8
    .kernarg_segment_size: 328
    .language:       OpenCL C
    .language_version:
      - 2
      - 0
    .max_flat_workgroup_size: 1024
    .name:           _ZN2at6native30max_unpooling2d_forward_kernelIN3c108BFloat16EEEvlPKT_PKllllllPS4_
    .private_segment_fixed_size: 0
    .sgpr_count:     34
    .sgpr_spill_count: 0
    .symbol:         _ZN2at6native30max_unpooling2d_forward_kernelIN3c108BFloat16EEEvlPKT_PKllllllPS4_.kd
    .uniform_work_group_size: 1
    .uses_dynamic_stack: false
    .vgpr_count:     25
    .vgpr_spill_count: 0
    .wavefront_size: 32
    .workgroup_processor_mode: 1
  - .args:
      - .offset:         0
        .size:           72
        .value_kind:     by_value
      - .offset:         72
        .size:           72
        .value_kind:     by_value
      - .address_space:  global
        .offset:         144
        .size:           8
        .value_kind:     global_buffer
      - .offset:         152
        .size:           8
        .value_kind:     by_value
      - .offset:         160
        .size:           8
        .value_kind:     by_value
      - .offset:         168
        .size:           8
        .value_kind:     by_value
      - .offset:         176
        .size:           8
        .value_kind:     by_value
      - .offset:         184
        .size:           4
        .value_kind:     hidden_block_count_x
      - .offset:         188
        .size:           4
        .value_kind:     hidden_block_count_y
      - .offset:         192
        .size:           4
        .value_kind:     hidden_block_count_z
      - .offset:         196
        .size:           2
        .value_kind:     hidden_group_size_x
      - .offset:         198
        .size:           2
        .value_kind:     hidden_group_size_y
      - .offset:         200
        .size:           2
        .value_kind:     hidden_group_size_z
      - .offset:         202
        .size:           2
        .value_kind:     hidden_remainder_x
      - .offset:         204
        .size:           2
        .value_kind:     hidden_remainder_y
      - .offset:         206
        .size:           2
        .value_kind:     hidden_remainder_z
      - .offset:         224
        .size:           8
        .value_kind:     hidden_global_offset_x
      - .offset:         232
        .size:           8
        .value_kind:     hidden_global_offset_y
      - .offset:         240
        .size:           8
        .value_kind:     hidden_global_offset_z
      - .offset:         248
        .size:           2
        .value_kind:     hidden_grid_dims
    .group_segment_fixed_size: 0
    .kernarg_segment_align: 8
    .kernarg_segment_size: 440
    .language:       OpenCL C
    .language_version:
      - 2
      - 0
    .max_flat_workgroup_size: 1024
    .name:           _ZN2at6native30max_unpooling3d_forward_kernelIhEEvN5torch10headeronly6detail27GenericPackedTensorAccessorINS4_14TensorAccessorIN3c108ArrayRefIlEEKT_Lm3ENS3_16DefaultPtrTraitsElEENS_6detail16IndexBoundsCheckILm4ElEESB_Lm4ESC_lEENS5_INS6_IS9_KlLm3ESC_lEESG_SI_Lm4ESC_lEEPSA_llll
    .private_segment_fixed_size: 0
    .sgpr_count:     31
    .sgpr_spill_count: 0
    .symbol:         _ZN2at6native30max_unpooling3d_forward_kernelIhEEvN5torch10headeronly6detail27GenericPackedTensorAccessorINS4_14TensorAccessorIN3c108ArrayRefIlEEKT_Lm3ENS3_16DefaultPtrTraitsElEENS_6detail16IndexBoundsCheckILm4ElEESB_Lm4ESC_lEENS5_INS6_IS9_KlLm3ESC_lEESG_SI_Lm4ESC_lEEPSA_llll.kd
    .uniform_work_group_size: 1
    .uses_dynamic_stack: false
    .vgpr_count:     10
    .vgpr_spill_count: 0
    .wavefront_size: 32
    .workgroup_processor_mode: 1
  - .args:
      - .offset:         0
        .size:           72
        .value_kind:     by_value
      - .offset:         72
        .size:           72
        .value_kind:     by_value
      - .address_space:  global
        .offset:         144
        .size:           8
        .value_kind:     global_buffer
      - .offset:         152
        .size:           8
        .value_kind:     by_value
      - .offset:         160
        .size:           8
        .value_kind:     by_value
      - .offset:         168
        .size:           8
        .value_kind:     by_value
      - .offset:         176
        .size:           8
        .value_kind:     by_value
      - .offset:         184
        .size:           4
        .value_kind:     hidden_block_count_x
      - .offset:         188
        .size:           4
        .value_kind:     hidden_block_count_y
      - .offset:         192
        .size:           4
        .value_kind:     hidden_block_count_z
      - .offset:         196
        .size:           2
        .value_kind:     hidden_group_size_x
      - .offset:         198
        .size:           2
        .value_kind:     hidden_group_size_y
      - .offset:         200
        .size:           2
        .value_kind:     hidden_group_size_z
      - .offset:         202
        .size:           2
        .value_kind:     hidden_remainder_x
      - .offset:         204
        .size:           2
        .value_kind:     hidden_remainder_y
      - .offset:         206
        .size:           2
        .value_kind:     hidden_remainder_z
      - .offset:         224
        .size:           8
        .value_kind:     hidden_global_offset_x
      - .offset:         232
        .size:           8
        .value_kind:     hidden_global_offset_y
      - .offset:         240
        .size:           8
        .value_kind:     hidden_global_offset_z
      - .offset:         248
        .size:           2
        .value_kind:     hidden_grid_dims
    .group_segment_fixed_size: 0
    .kernarg_segment_align: 8
    .kernarg_segment_size: 440
    .language:       OpenCL C
    .language_version:
      - 2
      - 0
    .max_flat_workgroup_size: 1024
    .name:           _ZN2at6native30max_unpooling3d_forward_kernelIaEEvN5torch10headeronly6detail27GenericPackedTensorAccessorINS4_14TensorAccessorIN3c108ArrayRefIlEEKT_Lm3ENS3_16DefaultPtrTraitsElEENS_6detail16IndexBoundsCheckILm4ElEESB_Lm4ESC_lEENS5_INS6_IS9_KlLm3ESC_lEESG_SI_Lm4ESC_lEEPSA_llll
    .private_segment_fixed_size: 0
    .sgpr_count:     31
    .sgpr_spill_count: 0
    .symbol:         _ZN2at6native30max_unpooling3d_forward_kernelIaEEvN5torch10headeronly6detail27GenericPackedTensorAccessorINS4_14TensorAccessorIN3c108ArrayRefIlEEKT_Lm3ENS3_16DefaultPtrTraitsElEENS_6detail16IndexBoundsCheckILm4ElEESB_Lm4ESC_lEENS5_INS6_IS9_KlLm3ESC_lEESG_SI_Lm4ESC_lEEPSA_llll.kd
    .uniform_work_group_size: 1
    .uses_dynamic_stack: false
    .vgpr_count:     10
    .vgpr_spill_count: 0
    .wavefront_size: 32
    .workgroup_processor_mode: 1
  - .args:
      - .offset:         0
        .size:           72
        .value_kind:     by_value
      - .offset:         72
        .size:           72
        .value_kind:     by_value
      - .address_space:  global
        .offset:         144
        .size:           8
        .value_kind:     global_buffer
      - .offset:         152
        .size:           8
        .value_kind:     by_value
      - .offset:         160
        .size:           8
        .value_kind:     by_value
      - .offset:         168
        .size:           8
        .value_kind:     by_value
      - .offset:         176
        .size:           8
        .value_kind:     by_value
      - .offset:         184
        .size:           4
        .value_kind:     hidden_block_count_x
      - .offset:         188
        .size:           4
        .value_kind:     hidden_block_count_y
      - .offset:         192
        .size:           4
        .value_kind:     hidden_block_count_z
      - .offset:         196
        .size:           2
        .value_kind:     hidden_group_size_x
      - .offset:         198
        .size:           2
        .value_kind:     hidden_group_size_y
      - .offset:         200
        .size:           2
        .value_kind:     hidden_group_size_z
      - .offset:         202
        .size:           2
        .value_kind:     hidden_remainder_x
      - .offset:         204
        .size:           2
        .value_kind:     hidden_remainder_y
      - .offset:         206
        .size:           2
        .value_kind:     hidden_remainder_z
      - .offset:         224
        .size:           8
        .value_kind:     hidden_global_offset_x
      - .offset:         232
        .size:           8
        .value_kind:     hidden_global_offset_y
      - .offset:         240
        .size:           8
        .value_kind:     hidden_global_offset_z
      - .offset:         248
        .size:           2
        .value_kind:     hidden_grid_dims
    .group_segment_fixed_size: 0
    .kernarg_segment_align: 8
    .kernarg_segment_size: 440
    .language:       OpenCL C
    .language_version:
      - 2
      - 0
    .max_flat_workgroup_size: 1024
    .name:           _ZN2at6native30max_unpooling3d_forward_kernelIiEEvN5torch10headeronly6detail27GenericPackedTensorAccessorINS4_14TensorAccessorIN3c108ArrayRefIlEEKT_Lm3ENS3_16DefaultPtrTraitsElEENS_6detail16IndexBoundsCheckILm4ElEESB_Lm4ESC_lEENS5_INS6_IS9_KlLm3ESC_lEESG_SI_Lm4ESC_lEEPSA_llll
    .private_segment_fixed_size: 0
    .sgpr_count:     31
    .sgpr_spill_count: 0
    .symbol:         _ZN2at6native30max_unpooling3d_forward_kernelIiEEvN5torch10headeronly6detail27GenericPackedTensorAccessorINS4_14TensorAccessorIN3c108ArrayRefIlEEKT_Lm3ENS3_16DefaultPtrTraitsElEENS_6detail16IndexBoundsCheckILm4ElEESB_Lm4ESC_lEENS5_INS6_IS9_KlLm3ESC_lEESG_SI_Lm4ESC_lEEPSA_llll.kd
    .uniform_work_group_size: 1
    .uses_dynamic_stack: false
    .vgpr_count:     12
    .vgpr_spill_count: 0
    .wavefront_size: 32
    .workgroup_processor_mode: 1
  - .args:
      - .offset:         0
        .size:           72
        .value_kind:     by_value
      - .offset:         72
        .size:           72
        .value_kind:     by_value
      - .address_space:  global
        .offset:         144
        .size:           8
        .value_kind:     global_buffer
      - .offset:         152
        .size:           8
        .value_kind:     by_value
      - .offset:         160
        .size:           8
        .value_kind:     by_value
      - .offset:         168
        .size:           8
        .value_kind:     by_value
      - .offset:         176
        .size:           8
        .value_kind:     by_value
      - .offset:         184
        .size:           4
        .value_kind:     hidden_block_count_x
      - .offset:         188
        .size:           4
        .value_kind:     hidden_block_count_y
      - .offset:         192
        .size:           4
        .value_kind:     hidden_block_count_z
      - .offset:         196
        .size:           2
        .value_kind:     hidden_group_size_x
      - .offset:         198
        .size:           2
        .value_kind:     hidden_group_size_y
      - .offset:         200
        .size:           2
        .value_kind:     hidden_group_size_z
      - .offset:         202
        .size:           2
        .value_kind:     hidden_remainder_x
      - .offset:         204
        .size:           2
        .value_kind:     hidden_remainder_y
      - .offset:         206
        .size:           2
        .value_kind:     hidden_remainder_z
      - .offset:         224
        .size:           8
        .value_kind:     hidden_global_offset_x
      - .offset:         232
        .size:           8
        .value_kind:     hidden_global_offset_y
      - .offset:         240
        .size:           8
        .value_kind:     hidden_global_offset_z
      - .offset:         248
        .size:           2
        .value_kind:     hidden_grid_dims
    .group_segment_fixed_size: 0
    .kernarg_segment_align: 8
    .kernarg_segment_size: 440
    .language:       OpenCL C
    .language_version:
      - 2
      - 0
    .max_flat_workgroup_size: 1024
    .name:           _ZN2at6native30max_unpooling3d_forward_kernelIlEEvN5torch10headeronly6detail27GenericPackedTensorAccessorINS4_14TensorAccessorIN3c108ArrayRefIlEEKT_Lm3ENS3_16DefaultPtrTraitsElEENS_6detail16IndexBoundsCheckILm4ElEESB_Lm4ESC_lEENS5_INS6_IS9_KlLm3ESC_lEESG_SI_Lm4ESC_lEEPSA_llll
    .private_segment_fixed_size: 0
    .sgpr_count:     31
    .sgpr_spill_count: 0
    .symbol:         _ZN2at6native30max_unpooling3d_forward_kernelIlEEvN5torch10headeronly6detail27GenericPackedTensorAccessorINS4_14TensorAccessorIN3c108ArrayRefIlEEKT_Lm3ENS3_16DefaultPtrTraitsElEENS_6detail16IndexBoundsCheckILm4ElEESB_Lm4ESC_lEENS5_INS6_IS9_KlLm3ESC_lEESG_SI_Lm4ESC_lEEPSA_llll.kd
    .uniform_work_group_size: 1
    .uses_dynamic_stack: false
    .vgpr_count:     12
    .vgpr_spill_count: 0
    .wavefront_size: 32
    .workgroup_processor_mode: 1
  - .args:
      - .offset:         0
        .size:           72
        .value_kind:     by_value
      - .offset:         72
        .size:           72
        .value_kind:     by_value
      - .address_space:  global
        .offset:         144
        .size:           8
        .value_kind:     global_buffer
      - .offset:         152
        .size:           8
        .value_kind:     by_value
      - .offset:         160
        .size:           8
        .value_kind:     by_value
      - .offset:         168
        .size:           8
        .value_kind:     by_value
      - .offset:         176
        .size:           8
        .value_kind:     by_value
      - .offset:         184
        .size:           4
        .value_kind:     hidden_block_count_x
      - .offset:         188
        .size:           4
        .value_kind:     hidden_block_count_y
      - .offset:         192
        .size:           4
        .value_kind:     hidden_block_count_z
      - .offset:         196
        .size:           2
        .value_kind:     hidden_group_size_x
      - .offset:         198
        .size:           2
        .value_kind:     hidden_group_size_y
      - .offset:         200
        .size:           2
        .value_kind:     hidden_group_size_z
      - .offset:         202
        .size:           2
        .value_kind:     hidden_remainder_x
      - .offset:         204
        .size:           2
        .value_kind:     hidden_remainder_y
      - .offset:         206
        .size:           2
        .value_kind:     hidden_remainder_z
      - .offset:         224
        .size:           8
        .value_kind:     hidden_global_offset_x
      - .offset:         232
        .size:           8
        .value_kind:     hidden_global_offset_y
      - .offset:         240
        .size:           8
        .value_kind:     hidden_global_offset_z
      - .offset:         248
        .size:           2
        .value_kind:     hidden_grid_dims
    .group_segment_fixed_size: 0
    .kernarg_segment_align: 8
    .kernarg_segment_size: 440
    .language:       OpenCL C
    .language_version:
      - 2
      - 0
    .max_flat_workgroup_size: 1024
    .name:           _ZN2at6native30max_unpooling3d_forward_kernelIsEEvN5torch10headeronly6detail27GenericPackedTensorAccessorINS4_14TensorAccessorIN3c108ArrayRefIlEEKT_Lm3ENS3_16DefaultPtrTraitsElEENS_6detail16IndexBoundsCheckILm4ElEESB_Lm4ESC_lEENS5_INS6_IS9_KlLm3ESC_lEESG_SI_Lm4ESC_lEEPSA_llll
    .private_segment_fixed_size: 0
    .sgpr_count:     31
    .sgpr_spill_count: 0
    .symbol:         _ZN2at6native30max_unpooling3d_forward_kernelIsEEvN5torch10headeronly6detail27GenericPackedTensorAccessorINS4_14TensorAccessorIN3c108ArrayRefIlEEKT_Lm3ENS3_16DefaultPtrTraitsElEENS_6detail16IndexBoundsCheckILm4ElEESB_Lm4ESC_lEENS5_INS6_IS9_KlLm3ESC_lEESG_SI_Lm4ESC_lEEPSA_llll.kd
    .uniform_work_group_size: 1
    .uses_dynamic_stack: false
    .vgpr_count:     12
    .vgpr_spill_count: 0
    .wavefront_size: 32
    .workgroup_processor_mode: 1
  - .args:
      - .offset:         0
        .size:           72
        .value_kind:     by_value
      - .offset:         72
        .size:           72
        .value_kind:     by_value
      - .address_space:  global
        .offset:         144
        .size:           8
        .value_kind:     global_buffer
      - .offset:         152
        .size:           8
        .value_kind:     by_value
      - .offset:         160
        .size:           8
        .value_kind:     by_value
      - .offset:         168
        .size:           8
        .value_kind:     by_value
      - .offset:         176
        .size:           8
        .value_kind:     by_value
      - .offset:         184
        .size:           4
        .value_kind:     hidden_block_count_x
      - .offset:         188
        .size:           4
        .value_kind:     hidden_block_count_y
      - .offset:         192
        .size:           4
        .value_kind:     hidden_block_count_z
      - .offset:         196
        .size:           2
        .value_kind:     hidden_group_size_x
      - .offset:         198
        .size:           2
        .value_kind:     hidden_group_size_y
      - .offset:         200
        .size:           2
        .value_kind:     hidden_group_size_z
      - .offset:         202
        .size:           2
        .value_kind:     hidden_remainder_x
      - .offset:         204
        .size:           2
        .value_kind:     hidden_remainder_y
      - .offset:         206
        .size:           2
        .value_kind:     hidden_remainder_z
      - .offset:         224
        .size:           8
        .value_kind:     hidden_global_offset_x
      - .offset:         232
        .size:           8
        .value_kind:     hidden_global_offset_y
      - .offset:         240
        .size:           8
        .value_kind:     hidden_global_offset_z
      - .offset:         248
        .size:           2
        .value_kind:     hidden_grid_dims
    .group_segment_fixed_size: 0
    .kernarg_segment_align: 8
    .kernarg_segment_size: 440
    .language:       OpenCL C
    .language_version:
      - 2
      - 0
    .max_flat_workgroup_size: 1024
    .name:           _ZN2at6native30max_unpooling3d_forward_kernelIdEEvN5torch10headeronly6detail27GenericPackedTensorAccessorINS4_14TensorAccessorIN3c108ArrayRefIlEEKT_Lm3ENS3_16DefaultPtrTraitsElEENS_6detail16IndexBoundsCheckILm4ElEESB_Lm4ESC_lEENS5_INS6_IS9_KlLm3ESC_lEESG_SI_Lm4ESC_lEEPSA_llll
    .private_segment_fixed_size: 0
    .sgpr_count:     31
    .sgpr_spill_count: 0
    .symbol:         _ZN2at6native30max_unpooling3d_forward_kernelIdEEvN5torch10headeronly6detail27GenericPackedTensorAccessorINS4_14TensorAccessorIN3c108ArrayRefIlEEKT_Lm3ENS3_16DefaultPtrTraitsElEENS_6detail16IndexBoundsCheckILm4ElEESB_Lm4ESC_lEENS5_INS6_IS9_KlLm3ESC_lEESG_SI_Lm4ESC_lEEPSA_llll.kd
    .uniform_work_group_size: 1
    .uses_dynamic_stack: false
    .vgpr_count:     12
    .vgpr_spill_count: 0
    .wavefront_size: 32
    .workgroup_processor_mode: 1
  - .args:
      - .offset:         0
        .size:           72
        .value_kind:     by_value
      - .offset:         72
        .size:           72
        .value_kind:     by_value
      - .address_space:  global
        .offset:         144
        .size:           8
        .value_kind:     global_buffer
      - .offset:         152
        .size:           8
        .value_kind:     by_value
      - .offset:         160
        .size:           8
        .value_kind:     by_value
      - .offset:         168
        .size:           8
        .value_kind:     by_value
      - .offset:         176
        .size:           8
        .value_kind:     by_value
      - .offset:         184
        .size:           4
        .value_kind:     hidden_block_count_x
      - .offset:         188
        .size:           4
        .value_kind:     hidden_block_count_y
      - .offset:         192
        .size:           4
        .value_kind:     hidden_block_count_z
      - .offset:         196
        .size:           2
        .value_kind:     hidden_group_size_x
      - .offset:         198
        .size:           2
        .value_kind:     hidden_group_size_y
      - .offset:         200
        .size:           2
        .value_kind:     hidden_group_size_z
      - .offset:         202
        .size:           2
        .value_kind:     hidden_remainder_x
      - .offset:         204
        .size:           2
        .value_kind:     hidden_remainder_y
      - .offset:         206
        .size:           2
        .value_kind:     hidden_remainder_z
      - .offset:         224
        .size:           8
        .value_kind:     hidden_global_offset_x
      - .offset:         232
        .size:           8
        .value_kind:     hidden_global_offset_y
      - .offset:         240
        .size:           8
        .value_kind:     hidden_global_offset_z
      - .offset:         248
        .size:           2
        .value_kind:     hidden_grid_dims
    .group_segment_fixed_size: 0
    .kernarg_segment_align: 8
    .kernarg_segment_size: 440
    .language:       OpenCL C
    .language_version:
      - 2
      - 0
    .max_flat_workgroup_size: 1024
    .name:           _ZN2at6native30max_unpooling3d_forward_kernelIfEEvN5torch10headeronly6detail27GenericPackedTensorAccessorINS4_14TensorAccessorIN3c108ArrayRefIlEEKT_Lm3ENS3_16DefaultPtrTraitsElEENS_6detail16IndexBoundsCheckILm4ElEESB_Lm4ESC_lEENS5_INS6_IS9_KlLm3ESC_lEESG_SI_Lm4ESC_lEEPSA_llll
    .private_segment_fixed_size: 0
    .sgpr_count:     31
    .sgpr_spill_count: 0
    .symbol:         _ZN2at6native30max_unpooling3d_forward_kernelIfEEvN5torch10headeronly6detail27GenericPackedTensorAccessorINS4_14TensorAccessorIN3c108ArrayRefIlEEKT_Lm3ENS3_16DefaultPtrTraitsElEENS_6detail16IndexBoundsCheckILm4ElEESB_Lm4ESC_lEENS5_INS6_IS9_KlLm3ESC_lEESG_SI_Lm4ESC_lEEPSA_llll.kd
    .uniform_work_group_size: 1
    .uses_dynamic_stack: false
    .vgpr_count:     12
    .vgpr_spill_count: 0
    .wavefront_size: 32
    .workgroup_processor_mode: 1
  - .args:
      - .offset:         0
        .size:           72
        .value_kind:     by_value
      - .offset:         72
        .size:           72
        .value_kind:     by_value
      - .address_space:  global
        .offset:         144
        .size:           8
        .value_kind:     global_buffer
      - .offset:         152
        .size:           8
        .value_kind:     by_value
      - .offset:         160
        .size:           8
        .value_kind:     by_value
      - .offset:         168
        .size:           8
        .value_kind:     by_value
      - .offset:         176
        .size:           8
        .value_kind:     by_value
      - .offset:         184
        .size:           4
        .value_kind:     hidden_block_count_x
      - .offset:         188
        .size:           4
        .value_kind:     hidden_block_count_y
      - .offset:         192
        .size:           4
        .value_kind:     hidden_block_count_z
      - .offset:         196
        .size:           2
        .value_kind:     hidden_group_size_x
      - .offset:         198
        .size:           2
        .value_kind:     hidden_group_size_y
      - .offset:         200
        .size:           2
        .value_kind:     hidden_group_size_z
      - .offset:         202
        .size:           2
        .value_kind:     hidden_remainder_x
      - .offset:         204
        .size:           2
        .value_kind:     hidden_remainder_y
      - .offset:         206
        .size:           2
        .value_kind:     hidden_remainder_z
      - .offset:         224
        .size:           8
        .value_kind:     hidden_global_offset_x
      - .offset:         232
        .size:           8
        .value_kind:     hidden_global_offset_y
      - .offset:         240
        .size:           8
        .value_kind:     hidden_global_offset_z
      - .offset:         248
        .size:           2
        .value_kind:     hidden_grid_dims
    .group_segment_fixed_size: 0
    .kernarg_segment_align: 8
    .kernarg_segment_size: 440
    .language:       OpenCL C
    .language_version:
      - 2
      - 0
    .max_flat_workgroup_size: 1024
    .name:           _ZN2at6native30max_unpooling3d_forward_kernelIN3c104HalfEEEvN5torch10headeronly6detail27GenericPackedTensorAccessorINS6_14TensorAccessorINS2_8ArrayRefIlEEKT_Lm3ENS5_16DefaultPtrTraitsElEENS_6detail16IndexBoundsCheckILm4ElEESC_Lm4ESD_lEENS7_INS8_ISA_KlLm3ESD_lEESH_SJ_Lm4ESD_lEEPSB_llll
    .private_segment_fixed_size: 0
    .sgpr_count:     31
    .sgpr_spill_count: 0
    .symbol:         _ZN2at6native30max_unpooling3d_forward_kernelIN3c104HalfEEEvN5torch10headeronly6detail27GenericPackedTensorAccessorINS6_14TensorAccessorINS2_8ArrayRefIlEEKT_Lm3ENS5_16DefaultPtrTraitsElEENS_6detail16IndexBoundsCheckILm4ElEESC_Lm4ESD_lEENS7_INS8_ISA_KlLm3ESD_lEESH_SJ_Lm4ESD_lEEPSB_llll.kd
    .uniform_work_group_size: 1
    .uses_dynamic_stack: false
    .vgpr_count:     12
    .vgpr_spill_count: 0
    .wavefront_size: 32
    .workgroup_processor_mode: 1
  - .args:
      - .offset:         0
        .size:           72
        .value_kind:     by_value
      - .offset:         72
        .size:           72
        .value_kind:     by_value
      - .address_space:  global
        .offset:         144
        .size:           8
        .value_kind:     global_buffer
      - .offset:         152
        .size:           8
        .value_kind:     by_value
      - .offset:         160
        .size:           8
        .value_kind:     by_value
      - .offset:         168
        .size:           8
        .value_kind:     by_value
      - .offset:         176
        .size:           8
        .value_kind:     by_value
      - .offset:         184
        .size:           4
        .value_kind:     hidden_block_count_x
      - .offset:         188
        .size:           4
        .value_kind:     hidden_block_count_y
      - .offset:         192
        .size:           4
        .value_kind:     hidden_block_count_z
      - .offset:         196
        .size:           2
        .value_kind:     hidden_group_size_x
      - .offset:         198
        .size:           2
        .value_kind:     hidden_group_size_y
      - .offset:         200
        .size:           2
        .value_kind:     hidden_group_size_z
      - .offset:         202
        .size:           2
        .value_kind:     hidden_remainder_x
      - .offset:         204
        .size:           2
        .value_kind:     hidden_remainder_y
      - .offset:         206
        .size:           2
        .value_kind:     hidden_remainder_z
      - .offset:         224
        .size:           8
        .value_kind:     hidden_global_offset_x
      - .offset:         232
        .size:           8
        .value_kind:     hidden_global_offset_y
      - .offset:         240
        .size:           8
        .value_kind:     hidden_global_offset_z
      - .offset:         248
        .size:           2
        .value_kind:     hidden_grid_dims
    .group_segment_fixed_size: 0
    .kernarg_segment_align: 8
    .kernarg_segment_size: 440
    .language:       OpenCL C
    .language_version:
      - 2
      - 0
    .max_flat_workgroup_size: 1024
    .name:           _ZN2at6native30max_unpooling3d_forward_kernelIN3c108BFloat16EEEvN5torch10headeronly6detail27GenericPackedTensorAccessorINS6_14TensorAccessorINS2_8ArrayRefIlEEKT_Lm3ENS5_16DefaultPtrTraitsElEENS_6detail16IndexBoundsCheckILm4ElEESC_Lm4ESD_lEENS7_INS8_ISA_KlLm3ESD_lEESH_SJ_Lm4ESD_lEEPSB_llll
    .private_segment_fixed_size: 0
    .sgpr_count:     31
    .sgpr_spill_count: 0
    .symbol:         _ZN2at6native30max_unpooling3d_forward_kernelIN3c108BFloat16EEEvN5torch10headeronly6detail27GenericPackedTensorAccessorINS6_14TensorAccessorINS2_8ArrayRefIlEEKT_Lm3ENS5_16DefaultPtrTraitsElEENS_6detail16IndexBoundsCheckILm4ElEESC_Lm4ESD_lEENS7_INS8_ISA_KlLm3ESD_lEESH_SJ_Lm4ESD_lEEPSB_llll.kd
    .uniform_work_group_size: 1
    .uses_dynamic_stack: false
    .vgpr_count:     12
    .vgpr_spill_count: 0
    .wavefront_size: 32
    .workgroup_processor_mode: 1
  - .args:
      - .offset:         0
        .size:           8
        .value_kind:     by_value
      - .address_space:  global
        .offset:         8
        .size:           8
        .value_kind:     global_buffer
      - .address_space:  global
        .offset:         16
        .size:           8
        .value_kind:     global_buffer
      - .offset:         24
        .size:           8
        .value_kind:     by_value
      - .offset:         32
        .size:           8
        .value_kind:     by_value
      - .offset:         40
        .size:           8
        .value_kind:     by_value
      - .offset:         48
        .size:           8
        .value_kind:     by_value
      - .offset:         56
        .size:           8
        .value_kind:     by_value
      - .address_space:  global
        .offset:         64
        .size:           8
        .value_kind:     global_buffer
      - .offset:         72
        .size:           4
        .value_kind:     hidden_block_count_x
      - .offset:         76
        .size:           4
        .value_kind:     hidden_block_count_y
      - .offset:         80
        .size:           4
        .value_kind:     hidden_block_count_z
      - .offset:         84
        .size:           2
        .value_kind:     hidden_group_size_x
      - .offset:         86
        .size:           2
        .value_kind:     hidden_group_size_y
      - .offset:         88
        .size:           2
        .value_kind:     hidden_group_size_z
      - .offset:         90
        .size:           2
        .value_kind:     hidden_remainder_x
      - .offset:         92
        .size:           2
        .value_kind:     hidden_remainder_y
      - .offset:         94
        .size:           2
        .value_kind:     hidden_remainder_z
      - .offset:         112
        .size:           8
        .value_kind:     hidden_global_offset_x
      - .offset:         120
        .size:           8
        .value_kind:     hidden_global_offset_y
      - .offset:         128
        .size:           8
        .value_kind:     hidden_global_offset_z
      - .offset:         136
        .size:           2
        .value_kind:     hidden_grid_dims
    .group_segment_fixed_size: 0
    .kernarg_segment_align: 8
    .kernarg_segment_size: 328
    .language:       OpenCL C
    .language_version:
      - 2
      - 0
    .max_flat_workgroup_size: 1024
    .name:           _ZN2at6native31max_unpooling2d_backward_kernelIhEEvlPKT_PKllllllPS2_
    .private_segment_fixed_size: 0
    .sgpr_count:     34
    .sgpr_spill_count: 0
    .symbol:         _ZN2at6native31max_unpooling2d_backward_kernelIhEEvlPKT_PKllllllPS2_.kd
    .uniform_work_group_size: 1
    .uses_dynamic_stack: false
    .vgpr_count:     23
    .vgpr_spill_count: 0
    .wavefront_size: 32
    .workgroup_processor_mode: 1
  - .args:
      - .offset:         0
        .size:           8
        .value_kind:     by_value
      - .address_space:  global
        .offset:         8
        .size:           8
        .value_kind:     global_buffer
      - .address_space:  global
        .offset:         16
        .size:           8
        .value_kind:     global_buffer
      - .offset:         24
        .size:           8
        .value_kind:     by_value
      - .offset:         32
        .size:           8
        .value_kind:     by_value
      - .offset:         40
        .size:           8
        .value_kind:     by_value
      - .offset:         48
        .size:           8
        .value_kind:     by_value
      - .offset:         56
        .size:           8
        .value_kind:     by_value
      - .address_space:  global
        .offset:         64
        .size:           8
        .value_kind:     global_buffer
      - .offset:         72
        .size:           4
        .value_kind:     hidden_block_count_x
      - .offset:         76
        .size:           4
        .value_kind:     hidden_block_count_y
      - .offset:         80
        .size:           4
        .value_kind:     hidden_block_count_z
      - .offset:         84
        .size:           2
        .value_kind:     hidden_group_size_x
      - .offset:         86
        .size:           2
        .value_kind:     hidden_group_size_y
      - .offset:         88
        .size:           2
        .value_kind:     hidden_group_size_z
      - .offset:         90
        .size:           2
        .value_kind:     hidden_remainder_x
      - .offset:         92
        .size:           2
        .value_kind:     hidden_remainder_y
      - .offset:         94
        .size:           2
        .value_kind:     hidden_remainder_z
      - .offset:         112
        .size:           8
        .value_kind:     hidden_global_offset_x
      - .offset:         120
        .size:           8
        .value_kind:     hidden_global_offset_y
      - .offset:         128
        .size:           8
        .value_kind:     hidden_global_offset_z
      - .offset:         136
        .size:           2
        .value_kind:     hidden_grid_dims
    .group_segment_fixed_size: 0
    .kernarg_segment_align: 8
    .kernarg_segment_size: 328
    .language:       OpenCL C
    .language_version:
      - 2
      - 0
    .max_flat_workgroup_size: 1024
    .name:           _ZN2at6native31max_unpooling2d_backward_kernelIaEEvlPKT_PKllllllPS2_
    .private_segment_fixed_size: 0
    .sgpr_count:     34
    .sgpr_spill_count: 0
    .symbol:         _ZN2at6native31max_unpooling2d_backward_kernelIaEEvlPKT_PKllllllPS2_.kd
    .uniform_work_group_size: 1
    .uses_dynamic_stack: false
    .vgpr_count:     23
    .vgpr_spill_count: 0
    .wavefront_size: 32
    .workgroup_processor_mode: 1
  - .args:
      - .offset:         0
        .size:           8
        .value_kind:     by_value
      - .address_space:  global
        .offset:         8
        .size:           8
        .value_kind:     global_buffer
      - .address_space:  global
        .offset:         16
        .size:           8
        .value_kind:     global_buffer
      - .offset:         24
        .size:           8
        .value_kind:     by_value
      - .offset:         32
        .size:           8
        .value_kind:     by_value
      - .offset:         40
        .size:           8
        .value_kind:     by_value
      - .offset:         48
        .size:           8
        .value_kind:     by_value
      - .offset:         56
        .size:           8
        .value_kind:     by_value
      - .address_space:  global
        .offset:         64
        .size:           8
        .value_kind:     global_buffer
      - .offset:         72
        .size:           4
        .value_kind:     hidden_block_count_x
      - .offset:         76
        .size:           4
        .value_kind:     hidden_block_count_y
      - .offset:         80
        .size:           4
        .value_kind:     hidden_block_count_z
      - .offset:         84
        .size:           2
        .value_kind:     hidden_group_size_x
      - .offset:         86
        .size:           2
        .value_kind:     hidden_group_size_y
      - .offset:         88
        .size:           2
        .value_kind:     hidden_group_size_z
      - .offset:         90
        .size:           2
        .value_kind:     hidden_remainder_x
      - .offset:         92
        .size:           2
        .value_kind:     hidden_remainder_y
      - .offset:         94
        .size:           2
        .value_kind:     hidden_remainder_z
      - .offset:         112
        .size:           8
        .value_kind:     hidden_global_offset_x
      - .offset:         120
        .size:           8
        .value_kind:     hidden_global_offset_y
      - .offset:         128
        .size:           8
        .value_kind:     hidden_global_offset_z
      - .offset:         136
        .size:           2
        .value_kind:     hidden_grid_dims
    .group_segment_fixed_size: 0
    .kernarg_segment_align: 8
    .kernarg_segment_size: 328
    .language:       OpenCL C
    .language_version:
      - 2
      - 0
    .max_flat_workgroup_size: 1024
    .name:           _ZN2at6native31max_unpooling2d_backward_kernelIiEEvlPKT_PKllllllPS2_
    .private_segment_fixed_size: 0
    .sgpr_count:     34
    .sgpr_spill_count: 0
    .symbol:         _ZN2at6native31max_unpooling2d_backward_kernelIiEEvlPKT_PKllllllPS2_.kd
    .uniform_work_group_size: 1
    .uses_dynamic_stack: false
    .vgpr_count:     23
    .vgpr_spill_count: 0
    .wavefront_size: 32
    .workgroup_processor_mode: 1
  - .args:
      - .offset:         0
        .size:           8
        .value_kind:     by_value
      - .address_space:  global
        .offset:         8
        .size:           8
        .value_kind:     global_buffer
      - .address_space:  global
        .offset:         16
        .size:           8
        .value_kind:     global_buffer
      - .offset:         24
        .size:           8
        .value_kind:     by_value
      - .offset:         32
        .size:           8
        .value_kind:     by_value
      - .offset:         40
        .size:           8
        .value_kind:     by_value
      - .offset:         48
        .size:           8
        .value_kind:     by_value
      - .offset:         56
        .size:           8
        .value_kind:     by_value
      - .address_space:  global
        .offset:         64
        .size:           8
        .value_kind:     global_buffer
      - .offset:         72
        .size:           4
        .value_kind:     hidden_block_count_x
      - .offset:         76
        .size:           4
        .value_kind:     hidden_block_count_y
      - .offset:         80
        .size:           4
        .value_kind:     hidden_block_count_z
      - .offset:         84
        .size:           2
        .value_kind:     hidden_group_size_x
      - .offset:         86
        .size:           2
        .value_kind:     hidden_group_size_y
      - .offset:         88
        .size:           2
        .value_kind:     hidden_group_size_z
      - .offset:         90
        .size:           2
        .value_kind:     hidden_remainder_x
      - .offset:         92
        .size:           2
        .value_kind:     hidden_remainder_y
      - .offset:         94
        .size:           2
        .value_kind:     hidden_remainder_z
      - .offset:         112
        .size:           8
        .value_kind:     hidden_global_offset_x
      - .offset:         120
        .size:           8
        .value_kind:     hidden_global_offset_y
      - .offset:         128
        .size:           8
        .value_kind:     hidden_global_offset_z
      - .offset:         136
        .size:           2
        .value_kind:     hidden_grid_dims
    .group_segment_fixed_size: 0
    .kernarg_segment_align: 8
    .kernarg_segment_size: 328
    .language:       OpenCL C
    .language_version:
      - 2
      - 0
    .max_flat_workgroup_size: 1024
    .name:           _ZN2at6native31max_unpooling2d_backward_kernelIlEEvlPKT_PKllllllPS2_
    .private_segment_fixed_size: 0
    .sgpr_count:     34
    .sgpr_spill_count: 0
    .symbol:         _ZN2at6native31max_unpooling2d_backward_kernelIlEEvlPKT_PKllllllPS2_.kd
    .uniform_work_group_size: 1
    .uses_dynamic_stack: false
    .vgpr_count:     23
    .vgpr_spill_count: 0
    .wavefront_size: 32
    .workgroup_processor_mode: 1
  - .args:
      - .offset:         0
        .size:           8
        .value_kind:     by_value
      - .address_space:  global
        .offset:         8
        .size:           8
        .value_kind:     global_buffer
      - .address_space:  global
        .offset:         16
        .size:           8
        .value_kind:     global_buffer
      - .offset:         24
        .size:           8
        .value_kind:     by_value
      - .offset:         32
        .size:           8
        .value_kind:     by_value
      - .offset:         40
        .size:           8
        .value_kind:     by_value
      - .offset:         48
        .size:           8
        .value_kind:     by_value
      - .offset:         56
        .size:           8
        .value_kind:     by_value
      - .address_space:  global
        .offset:         64
        .size:           8
        .value_kind:     global_buffer
      - .offset:         72
        .size:           4
        .value_kind:     hidden_block_count_x
      - .offset:         76
        .size:           4
        .value_kind:     hidden_block_count_y
      - .offset:         80
        .size:           4
        .value_kind:     hidden_block_count_z
      - .offset:         84
        .size:           2
        .value_kind:     hidden_group_size_x
      - .offset:         86
        .size:           2
        .value_kind:     hidden_group_size_y
      - .offset:         88
        .size:           2
        .value_kind:     hidden_group_size_z
      - .offset:         90
        .size:           2
        .value_kind:     hidden_remainder_x
      - .offset:         92
        .size:           2
        .value_kind:     hidden_remainder_y
      - .offset:         94
        .size:           2
        .value_kind:     hidden_remainder_z
      - .offset:         112
        .size:           8
        .value_kind:     hidden_global_offset_x
      - .offset:         120
        .size:           8
        .value_kind:     hidden_global_offset_y
      - .offset:         128
        .size:           8
        .value_kind:     hidden_global_offset_z
      - .offset:         136
        .size:           2
        .value_kind:     hidden_grid_dims
    .group_segment_fixed_size: 0
    .kernarg_segment_align: 8
    .kernarg_segment_size: 328
    .language:       OpenCL C
    .language_version:
      - 2
      - 0
    .max_flat_workgroup_size: 1024
    .name:           _ZN2at6native31max_unpooling2d_backward_kernelIsEEvlPKT_PKllllllPS2_
    .private_segment_fixed_size: 0
    .sgpr_count:     34
    .sgpr_spill_count: 0
    .symbol:         _ZN2at6native31max_unpooling2d_backward_kernelIsEEvlPKT_PKllllllPS2_.kd
    .uniform_work_group_size: 1
    .uses_dynamic_stack: false
    .vgpr_count:     23
    .vgpr_spill_count: 0
    .wavefront_size: 32
    .workgroup_processor_mode: 1
  - .args:
      - .offset:         0
        .size:           8
        .value_kind:     by_value
      - .address_space:  global
        .offset:         8
        .size:           8
        .value_kind:     global_buffer
      - .address_space:  global
        .offset:         16
        .size:           8
        .value_kind:     global_buffer
      - .offset:         24
        .size:           8
        .value_kind:     by_value
      - .offset:         32
        .size:           8
        .value_kind:     by_value
      - .offset:         40
        .size:           8
        .value_kind:     by_value
      - .offset:         48
        .size:           8
        .value_kind:     by_value
      - .offset:         56
        .size:           8
        .value_kind:     by_value
      - .address_space:  global
        .offset:         64
        .size:           8
        .value_kind:     global_buffer
      - .offset:         72
        .size:           4
        .value_kind:     hidden_block_count_x
      - .offset:         76
        .size:           4
        .value_kind:     hidden_block_count_y
      - .offset:         80
        .size:           4
        .value_kind:     hidden_block_count_z
      - .offset:         84
        .size:           2
        .value_kind:     hidden_group_size_x
      - .offset:         86
        .size:           2
        .value_kind:     hidden_group_size_y
      - .offset:         88
        .size:           2
        .value_kind:     hidden_group_size_z
      - .offset:         90
        .size:           2
        .value_kind:     hidden_remainder_x
      - .offset:         92
        .size:           2
        .value_kind:     hidden_remainder_y
      - .offset:         94
        .size:           2
        .value_kind:     hidden_remainder_z
      - .offset:         112
        .size:           8
        .value_kind:     hidden_global_offset_x
      - .offset:         120
        .size:           8
        .value_kind:     hidden_global_offset_y
      - .offset:         128
        .size:           8
        .value_kind:     hidden_global_offset_z
      - .offset:         136
        .size:           2
        .value_kind:     hidden_grid_dims
    .group_segment_fixed_size: 0
    .kernarg_segment_align: 8
    .kernarg_segment_size: 328
    .language:       OpenCL C
    .language_version:
      - 2
      - 0
    .max_flat_workgroup_size: 1024
    .name:           _ZN2at6native31max_unpooling2d_backward_kernelIdEEvlPKT_PKllllllPS2_
    .private_segment_fixed_size: 0
    .sgpr_count:     34
    .sgpr_spill_count: 0
    .symbol:         _ZN2at6native31max_unpooling2d_backward_kernelIdEEvlPKT_PKllllllPS2_.kd
    .uniform_work_group_size: 1
    .uses_dynamic_stack: false
    .vgpr_count:     23
    .vgpr_spill_count: 0
    .wavefront_size: 32
    .workgroup_processor_mode: 1
  - .args:
      - .offset:         0
        .size:           8
        .value_kind:     by_value
      - .address_space:  global
        .offset:         8
        .size:           8
        .value_kind:     global_buffer
      - .address_space:  global
        .offset:         16
        .size:           8
        .value_kind:     global_buffer
      - .offset:         24
        .size:           8
        .value_kind:     by_value
      - .offset:         32
        .size:           8
        .value_kind:     by_value
      - .offset:         40
        .size:           8
        .value_kind:     by_value
      - .offset:         48
        .size:           8
        .value_kind:     by_value
      - .offset:         56
        .size:           8
        .value_kind:     by_value
      - .address_space:  global
        .offset:         64
        .size:           8
        .value_kind:     global_buffer
      - .offset:         72
        .size:           4
        .value_kind:     hidden_block_count_x
      - .offset:         76
        .size:           4
        .value_kind:     hidden_block_count_y
      - .offset:         80
        .size:           4
        .value_kind:     hidden_block_count_z
      - .offset:         84
        .size:           2
        .value_kind:     hidden_group_size_x
      - .offset:         86
        .size:           2
        .value_kind:     hidden_group_size_y
      - .offset:         88
        .size:           2
        .value_kind:     hidden_group_size_z
      - .offset:         90
        .size:           2
        .value_kind:     hidden_remainder_x
      - .offset:         92
        .size:           2
        .value_kind:     hidden_remainder_y
      - .offset:         94
        .size:           2
        .value_kind:     hidden_remainder_z
      - .offset:         112
        .size:           8
        .value_kind:     hidden_global_offset_x
      - .offset:         120
        .size:           8
        .value_kind:     hidden_global_offset_y
      - .offset:         128
        .size:           8
        .value_kind:     hidden_global_offset_z
      - .offset:         136
        .size:           2
        .value_kind:     hidden_grid_dims
    .group_segment_fixed_size: 0
    .kernarg_segment_align: 8
    .kernarg_segment_size: 328
    .language:       OpenCL C
    .language_version:
      - 2
      - 0
    .max_flat_workgroup_size: 1024
    .name:           _ZN2at6native31max_unpooling2d_backward_kernelIfEEvlPKT_PKllllllPS2_
    .private_segment_fixed_size: 0
    .sgpr_count:     34
    .sgpr_spill_count: 0
    .symbol:         _ZN2at6native31max_unpooling2d_backward_kernelIfEEvlPKT_PKllllllPS2_.kd
    .uniform_work_group_size: 1
    .uses_dynamic_stack: false
    .vgpr_count:     23
    .vgpr_spill_count: 0
    .wavefront_size: 32
    .workgroup_processor_mode: 1
  - .args:
      - .offset:         0
        .size:           8
        .value_kind:     by_value
      - .address_space:  global
        .offset:         8
        .size:           8
        .value_kind:     global_buffer
      - .address_space:  global
        .offset:         16
        .size:           8
        .value_kind:     global_buffer
      - .offset:         24
        .size:           8
        .value_kind:     by_value
      - .offset:         32
        .size:           8
        .value_kind:     by_value
      - .offset:         40
        .size:           8
        .value_kind:     by_value
      - .offset:         48
        .size:           8
        .value_kind:     by_value
      - .offset:         56
        .size:           8
        .value_kind:     by_value
      - .address_space:  global
        .offset:         64
        .size:           8
        .value_kind:     global_buffer
      - .offset:         72
        .size:           4
        .value_kind:     hidden_block_count_x
      - .offset:         76
        .size:           4
        .value_kind:     hidden_block_count_y
      - .offset:         80
        .size:           4
        .value_kind:     hidden_block_count_z
      - .offset:         84
        .size:           2
        .value_kind:     hidden_group_size_x
      - .offset:         86
        .size:           2
        .value_kind:     hidden_group_size_y
      - .offset:         88
        .size:           2
        .value_kind:     hidden_group_size_z
      - .offset:         90
        .size:           2
        .value_kind:     hidden_remainder_x
      - .offset:         92
        .size:           2
        .value_kind:     hidden_remainder_y
      - .offset:         94
        .size:           2
        .value_kind:     hidden_remainder_z
      - .offset:         112
        .size:           8
        .value_kind:     hidden_global_offset_x
      - .offset:         120
        .size:           8
        .value_kind:     hidden_global_offset_y
      - .offset:         128
        .size:           8
        .value_kind:     hidden_global_offset_z
      - .offset:         136
        .size:           2
        .value_kind:     hidden_grid_dims
    .group_segment_fixed_size: 0
    .kernarg_segment_align: 8
    .kernarg_segment_size: 328
    .language:       OpenCL C
    .language_version:
      - 2
      - 0
    .max_flat_workgroup_size: 1024
    .name:           _ZN2at6native31max_unpooling2d_backward_kernelIN3c104HalfEEEvlPKT_PKllllllPS4_
    .private_segment_fixed_size: 0
    .sgpr_count:     34
    .sgpr_spill_count: 0
    .symbol:         _ZN2at6native31max_unpooling2d_backward_kernelIN3c104HalfEEEvlPKT_PKllllllPS4_.kd
    .uniform_work_group_size: 1
    .uses_dynamic_stack: false
    .vgpr_count:     23
    .vgpr_spill_count: 0
    .wavefront_size: 32
    .workgroup_processor_mode: 1
  - .args:
      - .offset:         0
        .size:           8
        .value_kind:     by_value
      - .address_space:  global
        .offset:         8
        .size:           8
        .value_kind:     global_buffer
      - .address_space:  global
        .offset:         16
        .size:           8
        .value_kind:     global_buffer
      - .offset:         24
        .size:           8
        .value_kind:     by_value
      - .offset:         32
        .size:           8
        .value_kind:     by_value
      - .offset:         40
        .size:           8
        .value_kind:     by_value
      - .offset:         48
        .size:           8
        .value_kind:     by_value
      - .offset:         56
        .size:           8
        .value_kind:     by_value
      - .address_space:  global
        .offset:         64
        .size:           8
        .value_kind:     global_buffer
      - .offset:         72
        .size:           4
        .value_kind:     hidden_block_count_x
      - .offset:         76
        .size:           4
        .value_kind:     hidden_block_count_y
      - .offset:         80
        .size:           4
        .value_kind:     hidden_block_count_z
      - .offset:         84
        .size:           2
        .value_kind:     hidden_group_size_x
      - .offset:         86
        .size:           2
        .value_kind:     hidden_group_size_y
      - .offset:         88
        .size:           2
        .value_kind:     hidden_group_size_z
      - .offset:         90
        .size:           2
        .value_kind:     hidden_remainder_x
      - .offset:         92
        .size:           2
        .value_kind:     hidden_remainder_y
      - .offset:         94
        .size:           2
        .value_kind:     hidden_remainder_z
      - .offset:         112
        .size:           8
        .value_kind:     hidden_global_offset_x
      - .offset:         120
        .size:           8
        .value_kind:     hidden_global_offset_y
      - .offset:         128
        .size:           8
        .value_kind:     hidden_global_offset_z
      - .offset:         136
        .size:           2
        .value_kind:     hidden_grid_dims
    .group_segment_fixed_size: 0
    .kernarg_segment_align: 8
    .kernarg_segment_size: 328
    .language:       OpenCL C
    .language_version:
      - 2
      - 0
    .max_flat_workgroup_size: 1024
    .name:           _ZN2at6native31max_unpooling2d_backward_kernelIN3c108BFloat16EEEvlPKT_PKllllllPS4_
    .private_segment_fixed_size: 0
    .sgpr_count:     34
    .sgpr_spill_count: 0
    .symbol:         _ZN2at6native31max_unpooling2d_backward_kernelIN3c108BFloat16EEEvlPKT_PKllllllPS4_.kd
    .uniform_work_group_size: 1
    .uses_dynamic_stack: false
    .vgpr_count:     23
    .vgpr_spill_count: 0
    .wavefront_size: 32
    .workgroup_processor_mode: 1
  - .args:
      - .address_space:  global
        .offset:         0
        .size:           8
        .value_kind:     global_buffer
      - .offset:         8
        .size:           8
        .value_kind:     by_value
      - .offset:         16
        .size:           8
        .value_kind:     by_value
      - .offset:         24
        .size:           8
        .value_kind:     by_value
      - .offset:         32
        .size:           72
        .value_kind:     by_value
      - .offset:         104
        .size:           72
        .value_kind:     by_value
      - .offset:         176
        .size:           4
        .value_kind:     by_value
      - .offset:         184
        .size:           4
        .value_kind:     hidden_block_count_x
      - .offset:         188
        .size:           4
        .value_kind:     hidden_block_count_y
      - .offset:         192
        .size:           4
        .value_kind:     hidden_block_count_z
      - .offset:         196
        .size:           2
        .value_kind:     hidden_group_size_x
      - .offset:         198
        .size:           2
        .value_kind:     hidden_group_size_y
      - .offset:         200
        .size:           2
        .value_kind:     hidden_group_size_z
      - .offset:         202
        .size:           2
        .value_kind:     hidden_remainder_x
      - .offset:         204
        .size:           2
        .value_kind:     hidden_remainder_y
      - .offset:         206
        .size:           2
        .value_kind:     hidden_remainder_z
      - .offset:         224
        .size:           8
        .value_kind:     hidden_global_offset_x
      - .offset:         232
        .size:           8
        .value_kind:     hidden_global_offset_y
      - .offset:         240
        .size:           8
        .value_kind:     hidden_global_offset_z
      - .offset:         248
        .size:           2
        .value_kind:     hidden_grid_dims
    .group_segment_fixed_size: 0
    .kernarg_segment_align: 8
    .kernarg_segment_size: 440
    .language:       OpenCL C
    .language_version:
      - 2
      - 0
    .max_flat_workgroup_size: 1024
    .name:           _ZN2at6native31max_unpooling3d_backward_kernelIhEEvPKT_lllN5torch10headeronly6detail27GenericPackedTensorAccessorINS7_14TensorAccessorIN3c108ArrayRefIlEElLm3ENS6_16DefaultPtrTraitsElEENS_6detail16IndexBoundsCheckILm4ElEElLm4ESD_lEENS8_INS9_ISC_S2_Lm3ESD_lEESH_S2_Lm4ESD_lEEi
    .private_segment_fixed_size: 0
    .sgpr_count:     26
    .sgpr_spill_count: 0
    .symbol:         _ZN2at6native31max_unpooling3d_backward_kernelIhEEvPKT_lllN5torch10headeronly6detail27GenericPackedTensorAccessorINS7_14TensorAccessorIN3c108ArrayRefIlEElLm3ENS6_16DefaultPtrTraitsElEENS_6detail16IndexBoundsCheckILm4ElEElLm4ESD_lEENS8_INS9_ISC_S2_Lm3ESD_lEESH_S2_Lm4ESD_lEEi.kd
    .uniform_work_group_size: 1
    .uses_dynamic_stack: false
    .vgpr_count:     12
    .vgpr_spill_count: 0
    .wavefront_size: 32
    .workgroup_processor_mode: 1
  - .args:
      - .address_space:  global
        .offset:         0
        .size:           8
        .value_kind:     global_buffer
      - .offset:         8
        .size:           8
        .value_kind:     by_value
      - .offset:         16
        .size:           8
        .value_kind:     by_value
      - .offset:         24
        .size:           8
        .value_kind:     by_value
      - .offset:         32
        .size:           72
        .value_kind:     by_value
      - .offset:         104
        .size:           72
        .value_kind:     by_value
      - .offset:         176
        .size:           4
        .value_kind:     by_value
      - .offset:         184
        .size:           4
        .value_kind:     hidden_block_count_x
      - .offset:         188
        .size:           4
        .value_kind:     hidden_block_count_y
      - .offset:         192
        .size:           4
        .value_kind:     hidden_block_count_z
      - .offset:         196
        .size:           2
        .value_kind:     hidden_group_size_x
      - .offset:         198
        .size:           2
        .value_kind:     hidden_group_size_y
      - .offset:         200
        .size:           2
        .value_kind:     hidden_group_size_z
      - .offset:         202
        .size:           2
        .value_kind:     hidden_remainder_x
      - .offset:         204
        .size:           2
        .value_kind:     hidden_remainder_y
      - .offset:         206
        .size:           2
        .value_kind:     hidden_remainder_z
      - .offset:         224
        .size:           8
        .value_kind:     hidden_global_offset_x
      - .offset:         232
        .size:           8
        .value_kind:     hidden_global_offset_y
      - .offset:         240
        .size:           8
        .value_kind:     hidden_global_offset_z
      - .offset:         248
        .size:           2
        .value_kind:     hidden_grid_dims
    .group_segment_fixed_size: 0
    .kernarg_segment_align: 8
    .kernarg_segment_size: 440
    .language:       OpenCL C
    .language_version:
      - 2
      - 0
    .max_flat_workgroup_size: 1024
    .name:           _ZN2at6native31max_unpooling3d_backward_kernelIaEEvPKT_lllN5torch10headeronly6detail27GenericPackedTensorAccessorINS7_14TensorAccessorIN3c108ArrayRefIlEElLm3ENS6_16DefaultPtrTraitsElEENS_6detail16IndexBoundsCheckILm4ElEElLm4ESD_lEENS8_INS9_ISC_S2_Lm3ESD_lEESH_S2_Lm4ESD_lEEi
    .private_segment_fixed_size: 0
    .sgpr_count:     26
    .sgpr_spill_count: 0
    .symbol:         _ZN2at6native31max_unpooling3d_backward_kernelIaEEvPKT_lllN5torch10headeronly6detail27GenericPackedTensorAccessorINS7_14TensorAccessorIN3c108ArrayRefIlEElLm3ENS6_16DefaultPtrTraitsElEENS_6detail16IndexBoundsCheckILm4ElEElLm4ESD_lEENS8_INS9_ISC_S2_Lm3ESD_lEESH_S2_Lm4ESD_lEEi.kd
    .uniform_work_group_size: 1
    .uses_dynamic_stack: false
    .vgpr_count:     12
    .vgpr_spill_count: 0
    .wavefront_size: 32
    .workgroup_processor_mode: 1
  - .args:
      - .address_space:  global
        .offset:         0
        .size:           8
        .value_kind:     global_buffer
      - .offset:         8
        .size:           8
        .value_kind:     by_value
      - .offset:         16
        .size:           8
        .value_kind:     by_value
      - .offset:         24
        .size:           8
        .value_kind:     by_value
      - .offset:         32
        .size:           72
        .value_kind:     by_value
      - .offset:         104
        .size:           72
        .value_kind:     by_value
      - .offset:         176
        .size:           4
        .value_kind:     by_value
      - .offset:         184
        .size:           4
        .value_kind:     hidden_block_count_x
      - .offset:         188
        .size:           4
        .value_kind:     hidden_block_count_y
      - .offset:         192
        .size:           4
        .value_kind:     hidden_block_count_z
      - .offset:         196
        .size:           2
        .value_kind:     hidden_group_size_x
      - .offset:         198
        .size:           2
        .value_kind:     hidden_group_size_y
      - .offset:         200
        .size:           2
        .value_kind:     hidden_group_size_z
      - .offset:         202
        .size:           2
        .value_kind:     hidden_remainder_x
      - .offset:         204
        .size:           2
        .value_kind:     hidden_remainder_y
      - .offset:         206
        .size:           2
        .value_kind:     hidden_remainder_z
      - .offset:         224
        .size:           8
        .value_kind:     hidden_global_offset_x
      - .offset:         232
        .size:           8
        .value_kind:     hidden_global_offset_y
      - .offset:         240
        .size:           8
        .value_kind:     hidden_global_offset_z
      - .offset:         248
        .size:           2
        .value_kind:     hidden_grid_dims
    .group_segment_fixed_size: 0
    .kernarg_segment_align: 8
    .kernarg_segment_size: 440
    .language:       OpenCL C
    .language_version:
      - 2
      - 0
    .max_flat_workgroup_size: 1024
    .name:           _ZN2at6native31max_unpooling3d_backward_kernelIiEEvPKT_lllN5torch10headeronly6detail27GenericPackedTensorAccessorINS7_14TensorAccessorIN3c108ArrayRefIlEElLm3ENS6_16DefaultPtrTraitsElEENS_6detail16IndexBoundsCheckILm4ElEElLm4ESD_lEENS8_INS9_ISC_S2_Lm3ESD_lEESH_S2_Lm4ESD_lEEi
    .private_segment_fixed_size: 0
    .sgpr_count:     26
    .sgpr_spill_count: 0
    .symbol:         _ZN2at6native31max_unpooling3d_backward_kernelIiEEvPKT_lllN5torch10headeronly6detail27GenericPackedTensorAccessorINS7_14TensorAccessorIN3c108ArrayRefIlEElLm3ENS6_16DefaultPtrTraitsElEENS_6detail16IndexBoundsCheckILm4ElEElLm4ESD_lEENS8_INS9_ISC_S2_Lm3ESD_lEESH_S2_Lm4ESD_lEEi.kd
    .uniform_work_group_size: 1
    .uses_dynamic_stack: false
    .vgpr_count:     12
    .vgpr_spill_count: 0
    .wavefront_size: 32
    .workgroup_processor_mode: 1
  - .args:
      - .address_space:  global
        .offset:         0
        .size:           8
        .value_kind:     global_buffer
      - .offset:         8
        .size:           8
        .value_kind:     by_value
      - .offset:         16
        .size:           8
        .value_kind:     by_value
      - .offset:         24
        .size:           8
        .value_kind:     by_value
      - .offset:         32
        .size:           72
        .value_kind:     by_value
      - .offset:         104
        .size:           72
        .value_kind:     by_value
      - .offset:         176
        .size:           4
        .value_kind:     by_value
      - .offset:         184
        .size:           4
        .value_kind:     hidden_block_count_x
      - .offset:         188
        .size:           4
        .value_kind:     hidden_block_count_y
      - .offset:         192
        .size:           4
        .value_kind:     hidden_block_count_z
      - .offset:         196
        .size:           2
        .value_kind:     hidden_group_size_x
      - .offset:         198
        .size:           2
        .value_kind:     hidden_group_size_y
      - .offset:         200
        .size:           2
        .value_kind:     hidden_group_size_z
      - .offset:         202
        .size:           2
        .value_kind:     hidden_remainder_x
      - .offset:         204
        .size:           2
        .value_kind:     hidden_remainder_y
      - .offset:         206
        .size:           2
        .value_kind:     hidden_remainder_z
      - .offset:         224
        .size:           8
        .value_kind:     hidden_global_offset_x
      - .offset:         232
        .size:           8
        .value_kind:     hidden_global_offset_y
      - .offset:         240
        .size:           8
        .value_kind:     hidden_global_offset_z
      - .offset:         248
        .size:           2
        .value_kind:     hidden_grid_dims
    .group_segment_fixed_size: 0
    .kernarg_segment_align: 8
    .kernarg_segment_size: 440
    .language:       OpenCL C
    .language_version:
      - 2
      - 0
    .max_flat_workgroup_size: 1024
    .name:           _ZN2at6native31max_unpooling3d_backward_kernelIlEEvPKT_lllN5torch10headeronly6detail27GenericPackedTensorAccessorINS7_14TensorAccessorIN3c108ArrayRefIlEElLm3ENS6_16DefaultPtrTraitsElEENS_6detail16IndexBoundsCheckILm4ElEElLm4ESD_lEENS8_INS9_ISC_S2_Lm3ESD_lEESH_S2_Lm4ESD_lEEi
    .private_segment_fixed_size: 0
    .sgpr_count:     26
    .sgpr_spill_count: 0
    .symbol:         _ZN2at6native31max_unpooling3d_backward_kernelIlEEvPKT_lllN5torch10headeronly6detail27GenericPackedTensorAccessorINS7_14TensorAccessorIN3c108ArrayRefIlEElLm3ENS6_16DefaultPtrTraitsElEENS_6detail16IndexBoundsCheckILm4ElEElLm4ESD_lEENS8_INS9_ISC_S2_Lm3ESD_lEESH_S2_Lm4ESD_lEEi.kd
    .uniform_work_group_size: 1
    .uses_dynamic_stack: false
    .vgpr_count:     12
    .vgpr_spill_count: 0
    .wavefront_size: 32
    .workgroup_processor_mode: 1
  - .args:
      - .address_space:  global
        .offset:         0
        .size:           8
        .value_kind:     global_buffer
      - .offset:         8
        .size:           8
        .value_kind:     by_value
      - .offset:         16
        .size:           8
        .value_kind:     by_value
      - .offset:         24
        .size:           8
        .value_kind:     by_value
      - .offset:         32
        .size:           72
        .value_kind:     by_value
      - .offset:         104
        .size:           72
        .value_kind:     by_value
      - .offset:         176
        .size:           4
        .value_kind:     by_value
      - .offset:         184
        .size:           4
        .value_kind:     hidden_block_count_x
      - .offset:         188
        .size:           4
        .value_kind:     hidden_block_count_y
      - .offset:         192
        .size:           4
        .value_kind:     hidden_block_count_z
      - .offset:         196
        .size:           2
        .value_kind:     hidden_group_size_x
      - .offset:         198
        .size:           2
        .value_kind:     hidden_group_size_y
      - .offset:         200
        .size:           2
        .value_kind:     hidden_group_size_z
      - .offset:         202
        .size:           2
        .value_kind:     hidden_remainder_x
      - .offset:         204
        .size:           2
        .value_kind:     hidden_remainder_y
      - .offset:         206
        .size:           2
        .value_kind:     hidden_remainder_z
      - .offset:         224
        .size:           8
        .value_kind:     hidden_global_offset_x
      - .offset:         232
        .size:           8
        .value_kind:     hidden_global_offset_y
      - .offset:         240
        .size:           8
        .value_kind:     hidden_global_offset_z
      - .offset:         248
        .size:           2
        .value_kind:     hidden_grid_dims
    .group_segment_fixed_size: 0
    .kernarg_segment_align: 8
    .kernarg_segment_size: 440
    .language:       OpenCL C
    .language_version:
      - 2
      - 0
    .max_flat_workgroup_size: 1024
    .name:           _ZN2at6native31max_unpooling3d_backward_kernelIsEEvPKT_lllN5torch10headeronly6detail27GenericPackedTensorAccessorINS7_14TensorAccessorIN3c108ArrayRefIlEElLm3ENS6_16DefaultPtrTraitsElEENS_6detail16IndexBoundsCheckILm4ElEElLm4ESD_lEENS8_INS9_ISC_S2_Lm3ESD_lEESH_S2_Lm4ESD_lEEi
    .private_segment_fixed_size: 0
    .sgpr_count:     26
    .sgpr_spill_count: 0
    .symbol:         _ZN2at6native31max_unpooling3d_backward_kernelIsEEvPKT_lllN5torch10headeronly6detail27GenericPackedTensorAccessorINS7_14TensorAccessorIN3c108ArrayRefIlEElLm3ENS6_16DefaultPtrTraitsElEENS_6detail16IndexBoundsCheckILm4ElEElLm4ESD_lEENS8_INS9_ISC_S2_Lm3ESD_lEESH_S2_Lm4ESD_lEEi.kd
    .uniform_work_group_size: 1
    .uses_dynamic_stack: false
    .vgpr_count:     12
    .vgpr_spill_count: 0
    .wavefront_size: 32
    .workgroup_processor_mode: 1
  - .args:
      - .address_space:  global
        .offset:         0
        .size:           8
        .value_kind:     global_buffer
      - .offset:         8
        .size:           8
        .value_kind:     by_value
      - .offset:         16
        .size:           8
        .value_kind:     by_value
      - .offset:         24
        .size:           8
        .value_kind:     by_value
      - .offset:         32
        .size:           72
        .value_kind:     by_value
      - .offset:         104
        .size:           72
        .value_kind:     by_value
      - .offset:         176
        .size:           4
        .value_kind:     by_value
      - .offset:         184
        .size:           4
        .value_kind:     hidden_block_count_x
      - .offset:         188
        .size:           4
        .value_kind:     hidden_block_count_y
      - .offset:         192
        .size:           4
        .value_kind:     hidden_block_count_z
      - .offset:         196
        .size:           2
        .value_kind:     hidden_group_size_x
      - .offset:         198
        .size:           2
        .value_kind:     hidden_group_size_y
      - .offset:         200
        .size:           2
        .value_kind:     hidden_group_size_z
      - .offset:         202
        .size:           2
        .value_kind:     hidden_remainder_x
      - .offset:         204
        .size:           2
        .value_kind:     hidden_remainder_y
      - .offset:         206
        .size:           2
        .value_kind:     hidden_remainder_z
      - .offset:         224
        .size:           8
        .value_kind:     hidden_global_offset_x
      - .offset:         232
        .size:           8
        .value_kind:     hidden_global_offset_y
      - .offset:         240
        .size:           8
        .value_kind:     hidden_global_offset_z
      - .offset:         248
        .size:           2
        .value_kind:     hidden_grid_dims
    .group_segment_fixed_size: 0
    .kernarg_segment_align: 8
    .kernarg_segment_size: 440
    .language:       OpenCL C
    .language_version:
      - 2
      - 0
    .max_flat_workgroup_size: 1024
    .name:           _ZN2at6native31max_unpooling3d_backward_kernelIdEEvPKT_lllN5torch10headeronly6detail27GenericPackedTensorAccessorINS7_14TensorAccessorIN3c108ArrayRefIlEElLm3ENS6_16DefaultPtrTraitsElEENS_6detail16IndexBoundsCheckILm4ElEElLm4ESD_lEENS8_INS9_ISC_S2_Lm3ESD_lEESH_S2_Lm4ESD_lEEi
    .private_segment_fixed_size: 0
    .sgpr_count:     26
    .sgpr_spill_count: 0
    .symbol:         _ZN2at6native31max_unpooling3d_backward_kernelIdEEvPKT_lllN5torch10headeronly6detail27GenericPackedTensorAccessorINS7_14TensorAccessorIN3c108ArrayRefIlEElLm3ENS6_16DefaultPtrTraitsElEENS_6detail16IndexBoundsCheckILm4ElEElLm4ESD_lEENS8_INS9_ISC_S2_Lm3ESD_lEESH_S2_Lm4ESD_lEEi.kd
    .uniform_work_group_size: 1
    .uses_dynamic_stack: false
    .vgpr_count:     12
    .vgpr_spill_count: 0
    .wavefront_size: 32
    .workgroup_processor_mode: 1
  - .args:
      - .address_space:  global
        .offset:         0
        .size:           8
        .value_kind:     global_buffer
      - .offset:         8
        .size:           8
        .value_kind:     by_value
      - .offset:         16
        .size:           8
        .value_kind:     by_value
      - .offset:         24
        .size:           8
        .value_kind:     by_value
      - .offset:         32
        .size:           72
        .value_kind:     by_value
      - .offset:         104
        .size:           72
        .value_kind:     by_value
      - .offset:         176
        .size:           4
        .value_kind:     by_value
      - .offset:         184
        .size:           4
        .value_kind:     hidden_block_count_x
      - .offset:         188
        .size:           4
        .value_kind:     hidden_block_count_y
      - .offset:         192
        .size:           4
        .value_kind:     hidden_block_count_z
      - .offset:         196
        .size:           2
        .value_kind:     hidden_group_size_x
      - .offset:         198
        .size:           2
        .value_kind:     hidden_group_size_y
      - .offset:         200
        .size:           2
        .value_kind:     hidden_group_size_z
      - .offset:         202
        .size:           2
        .value_kind:     hidden_remainder_x
      - .offset:         204
        .size:           2
        .value_kind:     hidden_remainder_y
      - .offset:         206
        .size:           2
        .value_kind:     hidden_remainder_z
      - .offset:         224
        .size:           8
        .value_kind:     hidden_global_offset_x
      - .offset:         232
        .size:           8
        .value_kind:     hidden_global_offset_y
      - .offset:         240
        .size:           8
        .value_kind:     hidden_global_offset_z
      - .offset:         248
        .size:           2
        .value_kind:     hidden_grid_dims
    .group_segment_fixed_size: 0
    .kernarg_segment_align: 8
    .kernarg_segment_size: 440
    .language:       OpenCL C
    .language_version:
      - 2
      - 0
    .max_flat_workgroup_size: 1024
    .name:           _ZN2at6native31max_unpooling3d_backward_kernelIfEEvPKT_lllN5torch10headeronly6detail27GenericPackedTensorAccessorINS7_14TensorAccessorIN3c108ArrayRefIlEElLm3ENS6_16DefaultPtrTraitsElEENS_6detail16IndexBoundsCheckILm4ElEElLm4ESD_lEENS8_INS9_ISC_S2_Lm3ESD_lEESH_S2_Lm4ESD_lEEi
    .private_segment_fixed_size: 0
    .sgpr_count:     26
    .sgpr_spill_count: 0
    .symbol:         _ZN2at6native31max_unpooling3d_backward_kernelIfEEvPKT_lllN5torch10headeronly6detail27GenericPackedTensorAccessorINS7_14TensorAccessorIN3c108ArrayRefIlEElLm3ENS6_16DefaultPtrTraitsElEENS_6detail16IndexBoundsCheckILm4ElEElLm4ESD_lEENS8_INS9_ISC_S2_Lm3ESD_lEESH_S2_Lm4ESD_lEEi.kd
    .uniform_work_group_size: 1
    .uses_dynamic_stack: false
    .vgpr_count:     12
    .vgpr_spill_count: 0
    .wavefront_size: 32
    .workgroup_processor_mode: 1
  - .args:
      - .address_space:  global
        .offset:         0
        .size:           8
        .value_kind:     global_buffer
      - .offset:         8
        .size:           8
        .value_kind:     by_value
      - .offset:         16
        .size:           8
        .value_kind:     by_value
      - .offset:         24
        .size:           8
        .value_kind:     by_value
      - .offset:         32
        .size:           72
        .value_kind:     by_value
      - .offset:         104
        .size:           72
        .value_kind:     by_value
      - .offset:         176
        .size:           4
        .value_kind:     by_value
      - .offset:         184
        .size:           4
        .value_kind:     hidden_block_count_x
      - .offset:         188
        .size:           4
        .value_kind:     hidden_block_count_y
      - .offset:         192
        .size:           4
        .value_kind:     hidden_block_count_z
      - .offset:         196
        .size:           2
        .value_kind:     hidden_group_size_x
      - .offset:         198
        .size:           2
        .value_kind:     hidden_group_size_y
      - .offset:         200
        .size:           2
        .value_kind:     hidden_group_size_z
      - .offset:         202
        .size:           2
        .value_kind:     hidden_remainder_x
      - .offset:         204
        .size:           2
        .value_kind:     hidden_remainder_y
      - .offset:         206
        .size:           2
        .value_kind:     hidden_remainder_z
      - .offset:         224
        .size:           8
        .value_kind:     hidden_global_offset_x
      - .offset:         232
        .size:           8
        .value_kind:     hidden_global_offset_y
      - .offset:         240
        .size:           8
        .value_kind:     hidden_global_offset_z
      - .offset:         248
        .size:           2
        .value_kind:     hidden_grid_dims
    .group_segment_fixed_size: 0
    .kernarg_segment_align: 8
    .kernarg_segment_size: 440
    .language:       OpenCL C
    .language_version:
      - 2
      - 0
    .max_flat_workgroup_size: 1024
    .name:           _ZN2at6native31max_unpooling3d_backward_kernelIN3c104HalfEEEvPKT_lllN5torch10headeronly6detail27GenericPackedTensorAccessorINS9_14TensorAccessorINS2_8ArrayRefIlEElLm3ENS8_16DefaultPtrTraitsElEENS_6detail16IndexBoundsCheckILm4ElEElLm4ESE_lEENSA_INSB_ISD_S4_Lm3ESE_lEESI_S4_Lm4ESE_lEEi
    .private_segment_fixed_size: 0
    .sgpr_count:     26
    .sgpr_spill_count: 0
    .symbol:         _ZN2at6native31max_unpooling3d_backward_kernelIN3c104HalfEEEvPKT_lllN5torch10headeronly6detail27GenericPackedTensorAccessorINS9_14TensorAccessorINS2_8ArrayRefIlEElLm3ENS8_16DefaultPtrTraitsElEENS_6detail16IndexBoundsCheckILm4ElEElLm4ESE_lEENSA_INSB_ISD_S4_Lm3ESE_lEESI_S4_Lm4ESE_lEEi.kd
    .uniform_work_group_size: 1
    .uses_dynamic_stack: false
    .vgpr_count:     12
    .vgpr_spill_count: 0
    .wavefront_size: 32
    .workgroup_processor_mode: 1
  - .args:
      - .address_space:  global
        .offset:         0
        .size:           8
        .value_kind:     global_buffer
      - .offset:         8
        .size:           8
        .value_kind:     by_value
      - .offset:         16
        .size:           8
        .value_kind:     by_value
      - .offset:         24
        .size:           8
        .value_kind:     by_value
      - .offset:         32
        .size:           72
        .value_kind:     by_value
      - .offset:         104
        .size:           72
        .value_kind:     by_value
      - .offset:         176
        .size:           4
        .value_kind:     by_value
      - .offset:         184
        .size:           4
        .value_kind:     hidden_block_count_x
      - .offset:         188
        .size:           4
        .value_kind:     hidden_block_count_y
      - .offset:         192
        .size:           4
        .value_kind:     hidden_block_count_z
      - .offset:         196
        .size:           2
        .value_kind:     hidden_group_size_x
      - .offset:         198
        .size:           2
        .value_kind:     hidden_group_size_y
      - .offset:         200
        .size:           2
        .value_kind:     hidden_group_size_z
      - .offset:         202
        .size:           2
        .value_kind:     hidden_remainder_x
      - .offset:         204
        .size:           2
        .value_kind:     hidden_remainder_y
      - .offset:         206
        .size:           2
        .value_kind:     hidden_remainder_z
      - .offset:         224
        .size:           8
        .value_kind:     hidden_global_offset_x
      - .offset:         232
        .size:           8
        .value_kind:     hidden_global_offset_y
      - .offset:         240
        .size:           8
        .value_kind:     hidden_global_offset_z
      - .offset:         248
        .size:           2
        .value_kind:     hidden_grid_dims
    .group_segment_fixed_size: 0
    .kernarg_segment_align: 8
    .kernarg_segment_size: 440
    .language:       OpenCL C
    .language_version:
      - 2
      - 0
    .max_flat_workgroup_size: 1024
    .name:           _ZN2at6native31max_unpooling3d_backward_kernelIN3c108BFloat16EEEvPKT_lllN5torch10headeronly6detail27GenericPackedTensorAccessorINS9_14TensorAccessorINS2_8ArrayRefIlEElLm3ENS8_16DefaultPtrTraitsElEENS_6detail16IndexBoundsCheckILm4ElEElLm4ESE_lEENSA_INSB_ISD_S4_Lm3ESE_lEESI_S4_Lm4ESE_lEEi
    .private_segment_fixed_size: 0
    .sgpr_count:     26
    .sgpr_spill_count: 0
    .symbol:         _ZN2at6native31max_unpooling3d_backward_kernelIN3c108BFloat16EEEvPKT_lllN5torch10headeronly6detail27GenericPackedTensorAccessorINS9_14TensorAccessorINS2_8ArrayRefIlEElLm3ENS8_16DefaultPtrTraitsElEENS_6detail16IndexBoundsCheckILm4ElEElLm4ESE_lEENSA_INSB_ISD_S4_Lm3ESE_lEESI_S4_Lm4ESE_lEEi.kd
    .uniform_work_group_size: 1
    .uses_dynamic_stack: false
    .vgpr_count:     12
    .vgpr_spill_count: 0
    .wavefront_size: 32
    .workgroup_processor_mode: 1
amdhsa.target:   amdgcn-amd-amdhsa--gfx1100
amdhsa.version:
  - 1
  - 2
...

	.end_amdgpu_metadata
